;; amdgpu-corpus repo=ROCm/rocSPARSE kind=compiled arch=gfx1250 opt=O3
	.amdgcn_target "amdgcn-amd-amdhsa--gfx1250"
	.amdhsa_code_object_version 6
	.section	.text._ZN9rocsparseL37csrgeam_fill_numeric_multipass_kernelILj256ELj32EiifEEvllNS_24const_host_device_scalarIT3_EEPKT1_PKT2_PKS2_S3_S6_S9_SB_S6_PS2_21rocsparse_index_base_SD_SD_bbb,"axG",@progbits,_ZN9rocsparseL37csrgeam_fill_numeric_multipass_kernelILj256ELj32EiifEEvllNS_24const_host_device_scalarIT3_EEPKT1_PKT2_PKS2_S3_S6_S9_SB_S6_PS2_21rocsparse_index_base_SD_SD_bbb,comdat
	.globl	_ZN9rocsparseL37csrgeam_fill_numeric_multipass_kernelILj256ELj32EiifEEvllNS_24const_host_device_scalarIT3_EEPKT1_PKT2_PKS2_S3_S6_S9_SB_S6_PS2_21rocsparse_index_base_SD_SD_bbb ; -- Begin function _ZN9rocsparseL37csrgeam_fill_numeric_multipass_kernelILj256ELj32EiifEEvllNS_24const_host_device_scalarIT3_EEPKT1_PKT2_PKS2_S3_S6_S9_SB_S6_PS2_21rocsparse_index_base_SD_SD_bbb
	.p2align	8
	.type	_ZN9rocsparseL37csrgeam_fill_numeric_multipass_kernelILj256ELj32EiifEEvllNS_24const_host_device_scalarIT3_EEPKT1_PKT2_PKS2_S3_S6_S9_SB_S6_PS2_21rocsparse_index_base_SD_SD_bbb,@function
_ZN9rocsparseL37csrgeam_fill_numeric_multipass_kernelILj256ELj32EiifEEvllNS_24const_host_device_scalarIT3_EEPKT1_PKT2_PKS2_S3_S6_S9_SB_S6_PS2_21rocsparse_index_base_SD_SD_bbb: ; @_ZN9rocsparseL37csrgeam_fill_numeric_multipass_kernelILj256ELj32EiifEEvllNS_24const_host_device_scalarIT3_EEPKT1_PKT2_PKS2_S3_S6_S9_SB_S6_PS2_21rocsparse_index_base_SD_SD_bbb
; %bb.0:
	s_clause 0x4
	s_load_b128 s[4:7], s[0:1], 0x60
	s_load_b32 s14, s[0:1], 0x6c
	s_load_b64 s[12:13], s[0:1], 0x10
	s_load_b64 s[2:3], s[0:1], 0x30
	s_load_b128 s[8:11], s[0:1], 0x0
	s_wait_kmcnt 0x0
	s_and_b32 s7, 1, s7
	s_bitcmp1_b32 s14, 16
	s_cselect_b32 s15, -1, 0
	s_cmp_eq_u32 s7, 1
	s_cselect_b32 s16, -1, 0
	s_delay_alu instid0(SALU_CYCLE_1) | instskip(SKIP_2) | instid1(SALU_CYCLE_1)
	s_and_b32 s7, s16, exec_lo
	s_cselect_b32 s7, s12, 0
	s_xor_b32 s16, s16, -1
	s_or_b32 s16, s15, s16
	s_delay_alu instid0(SALU_CYCLE_1)
	s_and_b32 vcc_lo, exec_lo, s16
	s_cbranch_vccnz .LBB0_2
; %bb.1:
	s_load_b32 s7, s[12:13], 0x0
.LBB0_2:
	s_bitcmp1_b32 s14, 8
	s_wait_xcnt 0x0
	s_cselect_b32 s12, -1, 0
	s_delay_alu instid0(SALU_CYCLE_1) | instskip(SKIP_2) | instid1(SALU_CYCLE_1)
	s_and_b32 s13, s12, exec_lo
	s_cselect_b32 s18, s2, 0
	s_xor_b32 s12, s12, -1
	s_or_b32 s12, s15, s12
	s_delay_alu instid0(SALU_CYCLE_1)
	s_and_b32 vcc_lo, exec_lo, s12
	s_cbranch_vccnz .LBB0_4
; %bb.3:
	s_load_b32 s18, s[2:3], 0x0
.LBB0_4:
	s_wait_xcnt 0x0
	s_bfe_u32 s2, ttmp6, 0x4000c
	s_and_b32 s3, ttmp6, 15
	s_add_co_i32 s2, s2, 1
	s_getreg_b32 s12, hwreg(HW_REG_IB_STS2, 6, 4)
	s_mul_i32 s2, ttmp9, s2
	v_dual_lshrrev_b32 v1, 5, v0 :: v_dual_mov_b32 v7, 0
	s_add_co_i32 s3, s3, s2
	s_cmp_eq_u32 s12, 0
	s_cselect_b32 s2, ttmp9, s3
	s_delay_alu instid0(SALU_CYCLE_1) | instskip(NEXT) | instid1(SALU_CYCLE_1)
	s_lshl_b32 s2, s2, 3
	v_and_or_b32 v6, 0x7fffff8, s2, v1
	s_mov_b32 s2, exec_lo
	s_delay_alu instid0(VALU_DEP_1)
	v_cmpx_gt_i64_e64 s[8:9], v[6:7]
	s_cbranch_execz .LBB0_35
; %bb.5:
	s_clause 0x2
	s_load_b128 s[12:15], s[0:1], 0x18
	s_load_b64 s[2:3], s[0:1], 0x38
	s_load_b64 s[8:9], s[0:1], 0x50
	v_lshlrev_b32_e32 v7, 2, v6
	s_wait_kmcnt 0x0
	s_clause 0x1
	global_load_b64 v[4:5], v7, s[12:13]
	global_load_b64 v[2:3], v7, s[2:3]
	global_load_b32 v1, v6, s[8:9] scale_offset
	s_wait_xcnt 0x1
	s_mov_b32 s2, exec_lo
	s_wait_loadcnt 0x2
	s_wait_xcnt 0x0
	v_cmpx_ge_i32_e64 v4, v5
	s_xor_b32 s2, exec_lo, s2
	s_delay_alu instid0(SALU_CYCLE_1)
	s_or_saveexec_b32 s2, s2
	v_subrev_nc_u32_e32 v12, s4, v4
	v_mov_b32_e32 v4, s10
	s_xor_b32 exec_lo, exec_lo, s2
	s_cbranch_execz .LBB0_7
; %bb.6:
	global_load_b32 v4, v12, s[14:15] scale_offset
	s_wait_loadcnt 0x0
	v_subrev_nc_u32_e32 v4, s4, v4
.LBB0_7:
	s_or_b32 exec_lo, exec_lo, s2
	s_load_b64 s[2:3], s[0:1], 0x40
	v_mov_b32_e32 v6, s10
	s_mov_b32 s8, exec_lo
	s_wait_loadcnt 0x1
	v_cmpx_ge_i32_e64 v2, v3
	s_xor_b32 s8, exec_lo, s8
; %bb.8:
	v_mov_b32_e32 v6, s10
; %bb.9:
	s_or_saveexec_b32 s12, s8
	s_load_b64 s[8:9], s[0:1], 0x58
	v_subrev_nc_u32_e32 v2, s5, v2
	s_delay_alu instid0(VALU_DEP_2)
	v_mov_b32_e32 v13, v6
	s_xor_b32 exec_lo, exec_lo, s12
	s_cbranch_execz .LBB0_11
; %bb.10:
	s_wait_kmcnt 0x0
	global_load_b32 v7, v2, s[2:3] scale_offset
	s_wait_loadcnt 0x0
	v_subrev_nc_u32_e32 v13, s5, v7
.LBB0_11:
	s_or_b32 exec_lo, exec_lo, s12
	v_and_b32_e32 v9, 0xe0, v0
	v_subrev_nc_u32_e32 v7, s4, v5
	v_mbcnt_lo_u32_b32 v5, -1, 0
	v_subrev_nc_u32_e32 v10, s5, v3
	s_wait_loadcnt 0x0
	v_subrev_nc_u32_e32 v11, s6, v1
	v_or_b32_e32 v8, 0x400, v9
	v_dual_lshlrev_b32 v9, 2, v9 :: v_dual_bitop2_b32 v3, 31, v0 bitop3:0x40
	v_bitop3_b32 v1, v0, 31, v0 bitop3:0xc
	v_xor_b32_e32 v14, 16, v5
	v_min_i32_e32 v4, v13, v4
	s_delay_alu instid0(VALU_DEP_4) | instskip(NEXT) | instid1(VALU_DEP_4)
	v_dual_add_nc_u32 v2, v2, v3 :: v_dual_bitop2_b32 v16, 2, v5 bitop3:0x14
	v_lshrrev_b32_e64 v13, v1, -1
	s_delay_alu instid0(VALU_DEP_4)
	v_cmp_gt_i32_e32 vcc_lo, 32, v14
	v_xor_b32_e32 v1, 8, v5
	v_xor_b32_e32 v15, 4, v5
	s_clause 0x1
	s_load_b64 s[12:13], s[0:1], 0x48
	s_load_b64 s[16:17], s[0:1], 0x28
	v_dual_add_nc_u32 v0, v12, v3 :: v_dual_cndmask_b32 v14, v5, v14, vcc_lo
	v_cmp_gt_i32_e32 vcc_lo, 32, v1
	v_lshl_or_b32 v12, v3, 2, v9
	v_mov_b32_e32 v21, 1
	s_wait_xcnt 0x0
	s_mov_b32 s1, 0
	v_dual_cndmask_b32 v1, v5, v1 :: v_dual_lshlrev_b32 v14, 2, v14
	v_cmp_gt_i32_e32 vcc_lo, 32, v15
	v_dual_mov_b32 v20, 0 :: v_dual_cndmask_b32 v18, v5, v15, vcc_lo
	v_xor_b32_e32 v17, 1, v5
	v_cmp_gt_i32_e32 vcc_lo, 32, v16
	v_dual_lshlrev_b32 v15, 2, v1 :: v_dual_cndmask_b32 v19, v5, v16, vcc_lo
	s_delay_alu instid0(VALU_DEP_4) | instskip(NEXT) | instid1(VALU_DEP_4)
	v_lshlrev_b32_e32 v16, 2, v18
	v_cmp_gt_i32_e32 vcc_lo, 32, v17
	s_delay_alu instid0(VALU_DEP_3) | instskip(NEXT) | instid1(VALU_DEP_1)
	v_dual_cndmask_b32 v5, v5, v17, vcc_lo :: v_dual_lshlrev_b32 v17, 2, v19
	v_dual_add_nc_u32 v19, v8, v3 :: v_dual_lshlrev_b32 v18, 2, v5
	s_branch .LBB0_13
.LBB0_12:                               ;   in Loop: Header=BB0_13 Depth=1
	s_wait_xcnt 0x0
	s_or_b32 exec_lo, exec_lo, s6
	ds_bpermute_b32 v1, v14, v5
	s_bcnt1_i32_b32 s6, vcc_lo
	s_wait_dscnt 0x0
	v_dual_add_nc_u32 v11, s6, v11 :: v_dual_min_i32 v1, v1, v5
	ds_bpermute_b32 v3, v15, v1
	s_wait_dscnt 0x0
	v_min_i32_e32 v1, v3, v1
	ds_bpermute_b32 v3, v16, v1
	s_wait_dscnt 0x0
	v_min_i32_e32 v1, v3, v1
	;; [unrolled: 3-line block ×4, first 2 shown]
	s_delay_alu instid0(VALU_DEP_1) | instskip(NEXT) | instid1(VALU_DEP_1)
	v_ashrrev_i32_e32 v5, 31, v4
	v_cmp_le_i64_e64 s0, s[10:11], v[4:5]
	s_or_b32 s1, s0, s1
	s_delay_alu instid0(SALU_CYCLE_1)
	s_and_not1_b32 exec_lo, exec_lo, s1
	s_cbranch_execz .LBB0_35
.LBB0_13:                               ; =>This Loop Header: Depth=1
                                        ;     Child Loop BB0_16 Depth 2
                                        ;     Child Loop BB0_26 Depth 2
	v_mov_b32_e32 v5, v6
	s_mov_b32 s6, exec_lo
	ds_store_b8 v19, v20
	ds_store_b32 v12, v20
	s_wait_dscnt 0x0
	v_cmpx_lt_i32_e64 v0, v7
	s_cbranch_execz .LBB0_23
; %bb.14:                               ;   in Loop: Header=BB0_13 Depth=1
	v_mov_b32_e32 v5, v6
	s_mov_b32 s19, 0
	s_branch .LBB0_16
.LBB0_15:                               ;   in Loop: Header=BB0_16 Depth=2
	s_or_b32 exec_lo, exec_lo, s20
	s_delay_alu instid0(SALU_CYCLE_1) | instskip(NEXT) | instid1(SALU_CYCLE_1)
	s_and_b32 s0, exec_lo, s0
	s_or_b32 s19, s0, s19
	s_delay_alu instid0(SALU_CYCLE_1)
	s_and_not1_b32 exec_lo, exec_lo, s19
	s_cbranch_execz .LBB0_22
.LBB0_16:                               ;   Parent Loop BB0_13 Depth=1
                                        ; =>  This Inner Loop Header: Depth=2
	global_load_b32 v1, v0, s[14:15] scale_offset
	s_wait_loadcnt 0x0
	v_subrev_nc_u32_e32 v1, s4, v1
	s_delay_alu instid0(VALU_DEP_1) | instskip(NEXT) | instid1(VALU_DEP_1)
	v_sub_nc_u32_e32 v3, v1, v4
	v_cmp_lt_u32_e64 s0, 31, v3
	v_cmp_gt_u32_e32 vcc_lo, 32, v3
	s_wait_xcnt 0x0
	s_and_saveexec_b32 s20, s0
	s_delay_alu instid0(SALU_CYCLE_1)
	s_xor_b32 s0, exec_lo, s20
	s_cbranch_execnz .LBB0_19
; %bb.17:                               ;   in Loop: Header=BB0_16 Depth=2
	s_and_not1_saveexec_b32 s0, s0
	s_cbranch_execnz .LBB0_20
.LBB0_18:                               ;   in Loop: Header=BB0_16 Depth=2
	s_or_b32 exec_lo, exec_lo, s0
	s_mov_b32 s0, -1
	s_and_saveexec_b32 s20, vcc_lo
	s_cbranch_execz .LBB0_15
	s_branch .LBB0_21
.LBB0_19:                               ;   in Loop: Header=BB0_16 Depth=2
	v_min_i32_e32 v5, v1, v5
                                        ; implicit-def: $vgpr3
	s_and_not1_saveexec_b32 s0, s0
	s_cbranch_execz .LBB0_18
.LBB0_20:                               ;   in Loop: Header=BB0_16 Depth=2
	v_ashrrev_i32_e32 v1, 31, v0
	s_wait_kmcnt 0x0
	s_delay_alu instid0(VALU_DEP_1)
	v_lshl_add_u64 v[22:23], v[0:1], 2, s[16:17]
	global_load_b32 v1, v[22:23], off
	s_wait_xcnt 0x0
	v_add_nc_u32_e32 v22, v8, v3
	v_lshl_add_u32 v3, v3, 2, v9
	s_wait_loadcnt 0x0
	v_mul_f32_e32 v1, s7, v1
	ds_store_b8 v22, v21
	ds_store_b32 v3, v1
	s_or_b32 exec_lo, exec_lo, s0
	s_mov_b32 s0, -1
	s_and_saveexec_b32 s20, vcc_lo
	s_cbranch_execz .LBB0_15
.LBB0_21:                               ;   in Loop: Header=BB0_16 Depth=2
	v_add_nc_u32_e32 v0, 32, v0
	s_delay_alu instid0(VALU_DEP_1)
	v_cmp_ge_i32_e32 vcc_lo, v0, v7
	s_or_not1_b32 s0, vcc_lo, exec_lo
	s_branch .LBB0_15
.LBB0_22:                               ;   in Loop: Header=BB0_13 Depth=1
	s_or_b32 exec_lo, exec_lo, s19
.LBB0_23:                               ;   in Loop: Header=BB0_13 Depth=1
	s_delay_alu instid0(SALU_CYCLE_1) | instskip(NEXT) | instid1(SALU_CYCLE_1)
	s_or_b32 exec_lo, exec_lo, s6
	s_mov_b32 s6, exec_lo
	s_wait_dscnt 0x0
	v_cmpx_lt_i32_e64 v2, v10
	s_cbranch_execz .LBB0_33
; %bb.24:                               ;   in Loop: Header=BB0_13 Depth=1
	s_mov_b32 s19, 0
	s_branch .LBB0_26
.LBB0_25:                               ;   in Loop: Header=BB0_26 Depth=2
	s_or_b32 exec_lo, exec_lo, s20
	s_delay_alu instid0(SALU_CYCLE_1) | instskip(NEXT) | instid1(SALU_CYCLE_1)
	s_and_b32 s0, exec_lo, s0
	s_or_b32 s19, s0, s19
	s_delay_alu instid0(SALU_CYCLE_1)
	s_and_not1_b32 exec_lo, exec_lo, s19
	s_cbranch_execz .LBB0_32
.LBB0_26:                               ;   Parent Loop BB0_13 Depth=1
                                        ; =>  This Inner Loop Header: Depth=2
	s_wait_kmcnt 0x0
	global_load_b32 v1, v2, s[2:3] scale_offset
	s_wait_loadcnt 0x0
	v_subrev_nc_u32_e32 v3, s5, v1
	s_delay_alu instid0(VALU_DEP_1) | instskip(NEXT) | instid1(VALU_DEP_1)
	v_sub_nc_u32_e32 v1, v3, v4
	v_cmp_lt_u32_e64 s0, 31, v1
	v_cmp_gt_u32_e32 vcc_lo, 32, v1
	s_wait_xcnt 0x0
	s_and_saveexec_b32 s20, s0
	s_delay_alu instid0(SALU_CYCLE_1)
	s_xor_b32 s0, exec_lo, s20
	s_cbranch_execnz .LBB0_29
; %bb.27:                               ;   in Loop: Header=BB0_26 Depth=2
	s_and_not1_saveexec_b32 s0, s0
	s_cbranch_execnz .LBB0_30
.LBB0_28:                               ;   in Loop: Header=BB0_26 Depth=2
	s_or_b32 exec_lo, exec_lo, s0
	s_mov_b32 s0, -1
	s_and_saveexec_b32 s20, vcc_lo
	s_cbranch_execz .LBB0_25
	s_branch .LBB0_31
.LBB0_29:                               ;   in Loop: Header=BB0_26 Depth=2
	v_min_i32_e32 v5, v3, v5
                                        ; implicit-def: $vgpr1
	s_and_not1_saveexec_b32 s0, s0
	s_cbranch_execz .LBB0_28
.LBB0_30:                               ;   in Loop: Header=BB0_26 Depth=2
	v_ashrrev_i32_e32 v3, 31, v2
	s_delay_alu instid0(VALU_DEP_1)
	v_lshl_add_u64 v[22:23], v[2:3], 2, s[12:13]
	global_load_b32 v3, v[22:23], off
	s_wait_xcnt 0x0
	v_lshl_add_u32 v22, v1, 2, v9
	v_add_nc_u32_e32 v1, v8, v1
	ds_load_b32 v23, v22
	s_wait_loadcnt_dscnt 0x0
	v_fmac_f32_e32 v23, s18, v3
	ds_store_b8 v1, v21
	ds_store_b32 v22, v23
	s_or_b32 exec_lo, exec_lo, s0
	s_mov_b32 s0, -1
	s_and_saveexec_b32 s20, vcc_lo
	s_cbranch_execz .LBB0_25
.LBB0_31:                               ;   in Loop: Header=BB0_26 Depth=2
	v_add_nc_u32_e32 v2, 32, v2
	s_delay_alu instid0(VALU_DEP_1)
	v_cmp_ge_i32_e32 vcc_lo, v2, v10
	s_or_not1_b32 s0, vcc_lo, exec_lo
	s_branch .LBB0_25
.LBB0_32:                               ;   in Loop: Header=BB0_13 Depth=1
	s_or_b32 exec_lo, exec_lo, s19
.LBB0_33:                               ;   in Loop: Header=BB0_13 Depth=1
	s_delay_alu instid0(SALU_CYCLE_1)
	s_or_b32 exec_lo, exec_lo, s6
	s_wait_dscnt 0x0
	ds_load_u8 v1, v19
	s_mov_b32 s6, exec_lo
	s_wait_dscnt 0x0
	v_and_b32_e32 v3, 1, v1
	v_cmp_ne_u16_e32 vcc_lo, 0, v1
	s_delay_alu instid0(VALU_DEP_2)
	v_cmpx_eq_u32_e32 1, v3
	s_cbranch_execz .LBB0_12
; %bb.34:                               ;   in Loop: Header=BB0_13 Depth=1
	ds_load_b32 v1, v12
	v_and_b32_e32 v3, vcc_lo, v13
	s_delay_alu instid0(VALU_DEP_1) | instskip(NEXT) | instid1(VALU_DEP_1)
	v_bcnt_u32_b32 v3, v3, 0
	v_add3_u32 v3, v11, v3, -1
	s_wait_dscnt 0x0
	s_wait_kmcnt 0x0
	global_store_b32 v3, v1, s[8:9] scale_offset
	s_branch .LBB0_12
.LBB0_35:
	s_endpgm
	.section	.rodata,"a",@progbits
	.p2align	6, 0x0
	.amdhsa_kernel _ZN9rocsparseL37csrgeam_fill_numeric_multipass_kernelILj256ELj32EiifEEvllNS_24const_host_device_scalarIT3_EEPKT1_PKT2_PKS2_S3_S6_S9_SB_S6_PS2_21rocsparse_index_base_SD_SD_bbb
		.amdhsa_group_segment_fixed_size 1280
		.amdhsa_private_segment_fixed_size 0
		.amdhsa_kernarg_size 112
		.amdhsa_user_sgpr_count 2
		.amdhsa_user_sgpr_dispatch_ptr 0
		.amdhsa_user_sgpr_queue_ptr 0
		.amdhsa_user_sgpr_kernarg_segment_ptr 1
		.amdhsa_user_sgpr_dispatch_id 0
		.amdhsa_user_sgpr_kernarg_preload_length 0
		.amdhsa_user_sgpr_kernarg_preload_offset 0
		.amdhsa_user_sgpr_private_segment_size 0
		.amdhsa_wavefront_size32 1
		.amdhsa_uses_dynamic_stack 0
		.amdhsa_enable_private_segment 0
		.amdhsa_system_sgpr_workgroup_id_x 1
		.amdhsa_system_sgpr_workgroup_id_y 0
		.amdhsa_system_sgpr_workgroup_id_z 0
		.amdhsa_system_sgpr_workgroup_info 0
		.amdhsa_system_vgpr_workitem_id 0
		.amdhsa_next_free_vgpr 24
		.amdhsa_next_free_sgpr 21
		.amdhsa_named_barrier_count 0
		.amdhsa_reserve_vcc 1
		.amdhsa_float_round_mode_32 0
		.amdhsa_float_round_mode_16_64 0
		.amdhsa_float_denorm_mode_32 3
		.amdhsa_float_denorm_mode_16_64 3
		.amdhsa_fp16_overflow 0
		.amdhsa_memory_ordered 1
		.amdhsa_forward_progress 1
		.amdhsa_inst_pref_size 13
		.amdhsa_round_robin_scheduling 0
		.amdhsa_exception_fp_ieee_invalid_op 0
		.amdhsa_exception_fp_denorm_src 0
		.amdhsa_exception_fp_ieee_div_zero 0
		.amdhsa_exception_fp_ieee_overflow 0
		.amdhsa_exception_fp_ieee_underflow 0
		.amdhsa_exception_fp_ieee_inexact 0
		.amdhsa_exception_int_div_zero 0
	.end_amdhsa_kernel
	.section	.text._ZN9rocsparseL37csrgeam_fill_numeric_multipass_kernelILj256ELj32EiifEEvllNS_24const_host_device_scalarIT3_EEPKT1_PKT2_PKS2_S3_S6_S9_SB_S6_PS2_21rocsparse_index_base_SD_SD_bbb,"axG",@progbits,_ZN9rocsparseL37csrgeam_fill_numeric_multipass_kernelILj256ELj32EiifEEvllNS_24const_host_device_scalarIT3_EEPKT1_PKT2_PKS2_S3_S6_S9_SB_S6_PS2_21rocsparse_index_base_SD_SD_bbb,comdat
.Lfunc_end0:
	.size	_ZN9rocsparseL37csrgeam_fill_numeric_multipass_kernelILj256ELj32EiifEEvllNS_24const_host_device_scalarIT3_EEPKT1_PKT2_PKS2_S3_S6_S9_SB_S6_PS2_21rocsparse_index_base_SD_SD_bbb, .Lfunc_end0-_ZN9rocsparseL37csrgeam_fill_numeric_multipass_kernelILj256ELj32EiifEEvllNS_24const_host_device_scalarIT3_EEPKT1_PKT2_PKS2_S3_S6_S9_SB_S6_PS2_21rocsparse_index_base_SD_SD_bbb
                                        ; -- End function
	.set _ZN9rocsparseL37csrgeam_fill_numeric_multipass_kernelILj256ELj32EiifEEvllNS_24const_host_device_scalarIT3_EEPKT1_PKT2_PKS2_S3_S6_S9_SB_S6_PS2_21rocsparse_index_base_SD_SD_bbb.num_vgpr, 24
	.set _ZN9rocsparseL37csrgeam_fill_numeric_multipass_kernelILj256ELj32EiifEEvllNS_24const_host_device_scalarIT3_EEPKT1_PKT2_PKS2_S3_S6_S9_SB_S6_PS2_21rocsparse_index_base_SD_SD_bbb.num_agpr, 0
	.set _ZN9rocsparseL37csrgeam_fill_numeric_multipass_kernelILj256ELj32EiifEEvllNS_24const_host_device_scalarIT3_EEPKT1_PKT2_PKS2_S3_S6_S9_SB_S6_PS2_21rocsparse_index_base_SD_SD_bbb.numbered_sgpr, 21
	.set _ZN9rocsparseL37csrgeam_fill_numeric_multipass_kernelILj256ELj32EiifEEvllNS_24const_host_device_scalarIT3_EEPKT1_PKT2_PKS2_S3_S6_S9_SB_S6_PS2_21rocsparse_index_base_SD_SD_bbb.num_named_barrier, 0
	.set _ZN9rocsparseL37csrgeam_fill_numeric_multipass_kernelILj256ELj32EiifEEvllNS_24const_host_device_scalarIT3_EEPKT1_PKT2_PKS2_S3_S6_S9_SB_S6_PS2_21rocsparse_index_base_SD_SD_bbb.private_seg_size, 0
	.set _ZN9rocsparseL37csrgeam_fill_numeric_multipass_kernelILj256ELj32EiifEEvllNS_24const_host_device_scalarIT3_EEPKT1_PKT2_PKS2_S3_S6_S9_SB_S6_PS2_21rocsparse_index_base_SD_SD_bbb.uses_vcc, 1
	.set _ZN9rocsparseL37csrgeam_fill_numeric_multipass_kernelILj256ELj32EiifEEvllNS_24const_host_device_scalarIT3_EEPKT1_PKT2_PKS2_S3_S6_S9_SB_S6_PS2_21rocsparse_index_base_SD_SD_bbb.uses_flat_scratch, 0
	.set _ZN9rocsparseL37csrgeam_fill_numeric_multipass_kernelILj256ELj32EiifEEvllNS_24const_host_device_scalarIT3_EEPKT1_PKT2_PKS2_S3_S6_S9_SB_S6_PS2_21rocsparse_index_base_SD_SD_bbb.has_dyn_sized_stack, 0
	.set _ZN9rocsparseL37csrgeam_fill_numeric_multipass_kernelILj256ELj32EiifEEvllNS_24const_host_device_scalarIT3_EEPKT1_PKT2_PKS2_S3_S6_S9_SB_S6_PS2_21rocsparse_index_base_SD_SD_bbb.has_recursion, 0
	.set _ZN9rocsparseL37csrgeam_fill_numeric_multipass_kernelILj256ELj32EiifEEvllNS_24const_host_device_scalarIT3_EEPKT1_PKT2_PKS2_S3_S6_S9_SB_S6_PS2_21rocsparse_index_base_SD_SD_bbb.has_indirect_call, 0
	.section	.AMDGPU.csdata,"",@progbits
; Kernel info:
; codeLenInByte = 1568
; TotalNumSgprs: 23
; NumVgprs: 24
; ScratchSize: 0
; MemoryBound: 0
; FloatMode: 240
; IeeeMode: 1
; LDSByteSize: 1280 bytes/workgroup (compile time only)
; SGPRBlocks: 0
; VGPRBlocks: 1
; NumSGPRsForWavesPerEU: 23
; NumVGPRsForWavesPerEU: 24
; NamedBarCnt: 0
; Occupancy: 16
; WaveLimiterHint : 1
; COMPUTE_PGM_RSRC2:SCRATCH_EN: 0
; COMPUTE_PGM_RSRC2:USER_SGPR: 2
; COMPUTE_PGM_RSRC2:TRAP_HANDLER: 0
; COMPUTE_PGM_RSRC2:TGID_X_EN: 1
; COMPUTE_PGM_RSRC2:TGID_Y_EN: 0
; COMPUTE_PGM_RSRC2:TGID_Z_EN: 0
; COMPUTE_PGM_RSRC2:TIDIG_COMP_CNT: 0
	.section	.text._ZN9rocsparseL37csrgeam_fill_numeric_multipass_kernelILj256ELj64EiifEEvllNS_24const_host_device_scalarIT3_EEPKT1_PKT2_PKS2_S3_S6_S9_SB_S6_PS2_21rocsparse_index_base_SD_SD_bbb,"axG",@progbits,_ZN9rocsparseL37csrgeam_fill_numeric_multipass_kernelILj256ELj64EiifEEvllNS_24const_host_device_scalarIT3_EEPKT1_PKT2_PKS2_S3_S6_S9_SB_S6_PS2_21rocsparse_index_base_SD_SD_bbb,comdat
	.globl	_ZN9rocsparseL37csrgeam_fill_numeric_multipass_kernelILj256ELj64EiifEEvllNS_24const_host_device_scalarIT3_EEPKT1_PKT2_PKS2_S3_S6_S9_SB_S6_PS2_21rocsparse_index_base_SD_SD_bbb ; -- Begin function _ZN9rocsparseL37csrgeam_fill_numeric_multipass_kernelILj256ELj64EiifEEvllNS_24const_host_device_scalarIT3_EEPKT1_PKT2_PKS2_S3_S6_S9_SB_S6_PS2_21rocsparse_index_base_SD_SD_bbb
	.p2align	8
	.type	_ZN9rocsparseL37csrgeam_fill_numeric_multipass_kernelILj256ELj64EiifEEvllNS_24const_host_device_scalarIT3_EEPKT1_PKT2_PKS2_S3_S6_S9_SB_S6_PS2_21rocsparse_index_base_SD_SD_bbb,@function
_ZN9rocsparseL37csrgeam_fill_numeric_multipass_kernelILj256ELj64EiifEEvllNS_24const_host_device_scalarIT3_EEPKT1_PKT2_PKS2_S3_S6_S9_SB_S6_PS2_21rocsparse_index_base_SD_SD_bbb: ; @_ZN9rocsparseL37csrgeam_fill_numeric_multipass_kernelILj256ELj64EiifEEvllNS_24const_host_device_scalarIT3_EEPKT1_PKT2_PKS2_S3_S6_S9_SB_S6_PS2_21rocsparse_index_base_SD_SD_bbb
; %bb.0:
	s_clause 0x4
	s_load_b128 s[4:7], s[0:1], 0x60
	s_load_b32 s14, s[0:1], 0x6c
	s_load_b64 s[12:13], s[0:1], 0x10
	s_load_b64 s[2:3], s[0:1], 0x30
	s_load_b128 s[8:11], s[0:1], 0x0
	s_wait_kmcnt 0x0
	s_and_b32 s7, 1, s7
	s_bitcmp1_b32 s14, 16
	s_cselect_b32 s15, -1, 0
	s_cmp_eq_u32 s7, 1
	s_cselect_b32 s16, -1, 0
	s_delay_alu instid0(SALU_CYCLE_1) | instskip(SKIP_2) | instid1(SALU_CYCLE_1)
	s_and_b32 s7, s16, exec_lo
	s_cselect_b32 s7, s12, 0
	s_xor_b32 s16, s16, -1
	s_or_b32 s16, s15, s16
	s_delay_alu instid0(SALU_CYCLE_1)
	s_and_b32 vcc_lo, exec_lo, s16
	s_cbranch_vccnz .LBB1_2
; %bb.1:
	s_load_b32 s7, s[12:13], 0x0
.LBB1_2:
	s_bitcmp1_b32 s14, 8
	s_wait_xcnt 0x0
	s_cselect_b32 s12, -1, 0
	s_delay_alu instid0(SALU_CYCLE_1) | instskip(SKIP_2) | instid1(SALU_CYCLE_1)
	s_and_b32 s13, s12, exec_lo
	s_cselect_b32 s18, s2, 0
	s_xor_b32 s12, s12, -1
	s_or_b32 s12, s15, s12
	s_delay_alu instid0(SALU_CYCLE_1)
	s_and_b32 vcc_lo, exec_lo, s12
	s_cbranch_vccnz .LBB1_4
; %bb.3:
	s_load_b32 s18, s[2:3], 0x0
.LBB1_4:
	s_wait_xcnt 0x0
	s_bfe_u32 s2, ttmp6, 0x4000c
	s_and_b32 s3, ttmp6, 15
	s_add_co_i32 s2, s2, 1
	s_getreg_b32 s12, hwreg(HW_REG_IB_STS2, 6, 4)
	s_mul_i32 s2, ttmp9, s2
	v_dual_lshrrev_b32 v1, 6, v0 :: v_dual_mov_b32 v7, 0
	s_add_co_i32 s3, s3, s2
	s_cmp_eq_u32 s12, 0
	s_cselect_b32 s2, ttmp9, s3
	s_delay_alu instid0(SALU_CYCLE_1) | instskip(NEXT) | instid1(SALU_CYCLE_1)
	s_lshl_b32 s2, s2, 2
	v_and_or_b32 v6, 0x3fffffc, s2, v1
	s_mov_b32 s2, exec_lo
	s_delay_alu instid0(VALU_DEP_1)
	v_cmpx_gt_i64_e64 s[8:9], v[6:7]
	s_cbranch_execz .LBB1_35
; %bb.5:
	s_clause 0x2
	s_load_b128 s[12:15], s[0:1], 0x18
	s_load_b64 s[2:3], s[0:1], 0x38
	s_load_b64 s[8:9], s[0:1], 0x50
	v_lshlrev_b32_e32 v7, 2, v6
	s_wait_kmcnt 0x0
	s_clause 0x1
	global_load_b64 v[4:5], v7, s[12:13]
	global_load_b64 v[2:3], v7, s[2:3]
	global_load_b32 v1, v6, s[8:9] scale_offset
	s_wait_xcnt 0x1
	s_mov_b32 s2, exec_lo
	s_wait_loadcnt 0x2
	s_wait_xcnt 0x0
	v_cmpx_ge_i32_e64 v4, v5
	s_xor_b32 s2, exec_lo, s2
	s_delay_alu instid0(SALU_CYCLE_1)
	s_or_saveexec_b32 s2, s2
	v_subrev_nc_u32_e32 v4, s4, v4
	v_mov_b32_e32 v6, s10
	s_xor_b32 exec_lo, exec_lo, s2
	s_cbranch_execz .LBB1_7
; %bb.6:
	global_load_b32 v6, v4, s[14:15] scale_offset
	s_wait_loadcnt 0x0
	v_subrev_nc_u32_e32 v6, s4, v6
.LBB1_7:
	s_or_b32 exec_lo, exec_lo, s2
	s_load_b64 s[2:3], s[0:1], 0x40
	v_mov_b32_e32 v8, s10
	s_mov_b32 s8, exec_lo
	s_wait_loadcnt 0x1
	v_cmpx_ge_i32_e64 v2, v3
	s_xor_b32 s8, exec_lo, s8
; %bb.8:
	v_mov_b32_e32 v8, s10
; %bb.9:
	s_or_saveexec_b32 s12, s8
	s_load_b64 s[8:9], s[0:1], 0x58
	v_subrev_nc_u32_e32 v7, s5, v2
	s_delay_alu instid0(VALU_DEP_2)
	v_mov_b32_e32 v2, v8
	s_xor_b32 exec_lo, exec_lo, s12
	s_cbranch_execz .LBB1_11
; %bb.10:
	s_wait_kmcnt 0x0
	global_load_b32 v2, v7, s[2:3] scale_offset
	s_wait_loadcnt 0x0
	v_subrev_nc_u32_e32 v2, s5, v2
.LBB1_11:
	s_or_b32 exec_lo, exec_lo, s12
	v_and_b32_e32 v10, 0xc0, v0
	v_mbcnt_lo_u32_b32 v15, -1, 0
	v_subrev_nc_u32_e32 v12, s5, v3
	s_wait_loadcnt 0x0
	v_subrev_nc_u32_e32 v13, s6, v1
	v_bitop3_b32 v1, v0, 63, v0 bitop3:0xc
	v_or_b32_e32 v9, 0x400, v10
	v_dual_lshlrev_b32 v10, 2, v10 :: v_dual_bitop2_b32 v20, 63, v0 bitop3:0x40
	v_or_b32_e32 v3, 32, v15
	v_min_i32_e32 v6, v2, v6
	v_subrev_nc_u32_e32 v11, s4, v5
	s_delay_alu instid0(VALU_DEP_4) | instskip(NEXT) | instid1(VALU_DEP_4)
	v_dual_add_nc_u32 v2, v4, v20 :: v_dual_bitop2_b32 v16, 2, v15 bitop3:0x14
	v_cmp_gt_i32_e32 vcc_lo, 32, v3
	v_dual_add_nc_u32 v0, v7, v20 :: v_dual_bitop2_b32 v7, 16, v15 bitop3:0x14
	v_lshrrev_b64 v[4:5], v1, -1
	v_xor_b32_e32 v1, 8, v15
	v_cndmask_b32_e32 v3, v15, v3, vcc_lo
	s_clause 0x1
	s_load_b64 s[12:13], s[0:1], 0x48
	s_load_b64 s[16:17], s[0:1], 0x28
	v_cmp_gt_i32_e32 vcc_lo, 32, v7
	v_lshl_or_b32 v14, v20, 2, v10
	s_wait_xcnt 0x0
	s_mov_b32 s1, 0
	v_dual_lshlrev_b32 v5, 2, v3 :: v_dual_add_nc_u32 v20, v9, v20
	v_cndmask_b32_e32 v3, v15, v7, vcc_lo
	v_cmp_gt_i32_e32 vcc_lo, 32, v1
	v_dual_mov_b32 v21, 0 :: v_dual_mov_b32 v22, 1
	v_dual_cndmask_b32 v1, v15, v1, vcc_lo :: v_dual_bitop2_b32 v17, 1, v15 bitop3:0x14
	v_xor_b32_e32 v7, 4, v15
	s_delay_alu instid0(VALU_DEP_1) | instskip(SKIP_4) | instid1(VALU_DEP_2)
	v_cmp_gt_i32_e32 vcc_lo, 32, v7
	v_cndmask_b32_e32 v7, v15, v7, vcc_lo
	v_cmp_gt_i32_e32 vcc_lo, 32, v16
	v_dual_cndmask_b32 v18, v15, v16, vcc_lo :: v_dual_lshlrev_b32 v16, 2, v1
	v_cmp_gt_i32_e32 vcc_lo, 32, v17
	v_dual_cndmask_b32 v19, v15, v17 :: v_dual_lshlrev_b32 v18, 2, v18
	v_lshlrev_b32_e32 v15, 2, v3
	v_lshlrev_b32_e32 v17, 2, v7
	s_delay_alu instid0(VALU_DEP_3)
	v_lshlrev_b32_e32 v19, 2, v19
	s_branch .LBB1_13
.LBB1_12:                               ;   in Loop: Header=BB1_13 Depth=1
	s_wait_xcnt 0x0
	s_or_b32 exec_lo, exec_lo, s6
	ds_bpermute_b32 v1, v5, v7
	s_bcnt1_i32_b32 s6, vcc_lo
	s_wait_dscnt 0x0
	v_dual_add_nc_u32 v13, s6, v13 :: v_dual_min_i32 v1, v1, v7
	ds_bpermute_b32 v3, v15, v1
	s_wait_dscnt 0x0
	v_min_i32_e32 v1, v3, v1
	ds_bpermute_b32 v3, v16, v1
	s_wait_dscnt 0x0
	v_min_i32_e32 v1, v3, v1
	;; [unrolled: 3-line block ×5, first 2 shown]
	s_delay_alu instid0(VALU_DEP_1) | instskip(NEXT) | instid1(VALU_DEP_1)
	v_ashrrev_i32_e32 v7, 31, v6
	v_cmp_le_i64_e64 s0, s[10:11], v[6:7]
	s_or_b32 s1, s0, s1
	s_delay_alu instid0(SALU_CYCLE_1)
	s_and_not1_b32 exec_lo, exec_lo, s1
	s_cbranch_execz .LBB1_35
.LBB1_13:                               ; =>This Loop Header: Depth=1
                                        ;     Child Loop BB1_16 Depth 2
                                        ;     Child Loop BB1_26 Depth 2
	v_mov_b32_e32 v7, v8
	s_mov_b32 s6, exec_lo
	ds_store_b8 v20, v21
	ds_store_b32 v14, v21
	s_wait_dscnt 0x0
	v_cmpx_lt_i32_e64 v2, v11
	s_cbranch_execz .LBB1_23
; %bb.14:                               ;   in Loop: Header=BB1_13 Depth=1
	v_mov_b32_e32 v7, v8
	s_mov_b32 s19, 0
	s_branch .LBB1_16
.LBB1_15:                               ;   in Loop: Header=BB1_16 Depth=2
	s_or_b32 exec_lo, exec_lo, s20
	s_delay_alu instid0(SALU_CYCLE_1) | instskip(NEXT) | instid1(SALU_CYCLE_1)
	s_and_b32 s0, exec_lo, s0
	s_or_b32 s19, s0, s19
	s_delay_alu instid0(SALU_CYCLE_1)
	s_and_not1_b32 exec_lo, exec_lo, s19
	s_cbranch_execz .LBB1_22
.LBB1_16:                               ;   Parent Loop BB1_13 Depth=1
                                        ; =>  This Inner Loop Header: Depth=2
	global_load_b32 v1, v2, s[14:15] scale_offset
	s_wait_loadcnt 0x0
	v_subrev_nc_u32_e32 v3, s4, v1
	s_delay_alu instid0(VALU_DEP_1) | instskip(NEXT) | instid1(VALU_DEP_1)
	v_sub_nc_u32_e32 v1, v3, v6
	v_cmp_lt_u32_e64 s0, 63, v1
	v_cmp_gt_u32_e32 vcc_lo, 64, v1
	s_wait_xcnt 0x0
	s_and_saveexec_b32 s20, s0
	s_delay_alu instid0(SALU_CYCLE_1)
	s_xor_b32 s0, exec_lo, s20
	s_cbranch_execnz .LBB1_19
; %bb.17:                               ;   in Loop: Header=BB1_16 Depth=2
	s_and_not1_saveexec_b32 s0, s0
	s_cbranch_execnz .LBB1_20
.LBB1_18:                               ;   in Loop: Header=BB1_16 Depth=2
	s_or_b32 exec_lo, exec_lo, s0
	s_mov_b32 s0, -1
	s_and_saveexec_b32 s20, vcc_lo
	s_cbranch_execz .LBB1_15
	s_branch .LBB1_21
.LBB1_19:                               ;   in Loop: Header=BB1_16 Depth=2
	v_min_i32_e32 v7, v3, v7
                                        ; implicit-def: $vgpr1
	s_and_not1_saveexec_b32 s0, s0
	s_cbranch_execz .LBB1_18
.LBB1_20:                               ;   in Loop: Header=BB1_16 Depth=2
	v_dual_ashrrev_i32 v3, 31, v2 :: v_dual_add_nc_u32 v23, v9, v1
	v_lshl_add_u32 v1, v1, 2, v10
	s_wait_kmcnt 0x0
	s_delay_alu instid0(VALU_DEP_2)
	v_lshl_add_u64 v[24:25], v[2:3], 2, s[16:17]
	global_load_b32 v3, v[24:25], off
	s_wait_loadcnt 0x0
	v_mul_f32_e32 v3, s7, v3
	ds_store_b8 v23, v22
	ds_store_b32 v1, v3
	s_wait_xcnt 0x0
	s_or_b32 exec_lo, exec_lo, s0
	s_mov_b32 s0, -1
	s_and_saveexec_b32 s20, vcc_lo
	s_cbranch_execz .LBB1_15
.LBB1_21:                               ;   in Loop: Header=BB1_16 Depth=2
	v_add_nc_u32_e32 v2, 64, v2
	s_delay_alu instid0(VALU_DEP_1)
	v_cmp_ge_i32_e32 vcc_lo, v2, v11
	s_or_not1_b32 s0, vcc_lo, exec_lo
	s_branch .LBB1_15
.LBB1_22:                               ;   in Loop: Header=BB1_13 Depth=1
	s_or_b32 exec_lo, exec_lo, s19
.LBB1_23:                               ;   in Loop: Header=BB1_13 Depth=1
	s_delay_alu instid0(SALU_CYCLE_1) | instskip(NEXT) | instid1(SALU_CYCLE_1)
	s_or_b32 exec_lo, exec_lo, s6
	s_mov_b32 s6, exec_lo
	s_wait_dscnt 0x0
	v_cmpx_lt_i32_e64 v0, v12
	s_cbranch_execz .LBB1_33
; %bb.24:                               ;   in Loop: Header=BB1_13 Depth=1
	s_mov_b32 s19, 0
	s_branch .LBB1_26
.LBB1_25:                               ;   in Loop: Header=BB1_26 Depth=2
	s_or_b32 exec_lo, exec_lo, s20
	s_delay_alu instid0(SALU_CYCLE_1) | instskip(NEXT) | instid1(SALU_CYCLE_1)
	s_and_b32 s0, exec_lo, s0
	s_or_b32 s19, s0, s19
	s_delay_alu instid0(SALU_CYCLE_1)
	s_and_not1_b32 exec_lo, exec_lo, s19
	s_cbranch_execz .LBB1_32
.LBB1_26:                               ;   Parent Loop BB1_13 Depth=1
                                        ; =>  This Inner Loop Header: Depth=2
	s_wait_kmcnt 0x0
	global_load_b32 v1, v0, s[2:3] scale_offset
	s_wait_loadcnt 0x0
	v_subrev_nc_u32_e32 v1, s5, v1
	s_delay_alu instid0(VALU_DEP_1) | instskip(NEXT) | instid1(VALU_DEP_1)
	v_sub_nc_u32_e32 v3, v1, v6
	v_cmp_lt_u32_e64 s0, 63, v3
	v_cmp_gt_u32_e32 vcc_lo, 64, v3
	s_wait_xcnt 0x0
	s_and_saveexec_b32 s20, s0
	s_delay_alu instid0(SALU_CYCLE_1)
	s_xor_b32 s0, exec_lo, s20
	s_cbranch_execnz .LBB1_29
; %bb.27:                               ;   in Loop: Header=BB1_26 Depth=2
	s_and_not1_saveexec_b32 s0, s0
	s_cbranch_execnz .LBB1_30
.LBB1_28:                               ;   in Loop: Header=BB1_26 Depth=2
	s_or_b32 exec_lo, exec_lo, s0
	s_mov_b32 s0, -1
	s_and_saveexec_b32 s20, vcc_lo
	s_cbranch_execz .LBB1_25
	s_branch .LBB1_31
.LBB1_29:                               ;   in Loop: Header=BB1_26 Depth=2
	v_min_i32_e32 v7, v1, v7
                                        ; implicit-def: $vgpr3
	s_and_not1_saveexec_b32 s0, s0
	s_cbranch_execz .LBB1_28
.LBB1_30:                               ;   in Loop: Header=BB1_26 Depth=2
	v_ashrrev_i32_e32 v1, 31, v0
	v_lshl_add_u32 v23, v3, 2, v10
	v_add_nc_u32_e32 v3, v9, v3
	s_delay_alu instid0(VALU_DEP_3)
	v_lshl_add_u64 v[24:25], v[0:1], 2, s[12:13]
	global_load_b32 v1, v[24:25], off
	s_wait_xcnt 0x0
	ds_load_b32 v24, v23
	s_wait_loadcnt_dscnt 0x0
	v_fmac_f32_e32 v24, s18, v1
	ds_store_b8 v3, v22
	ds_store_b32 v23, v24
	s_or_b32 exec_lo, exec_lo, s0
	s_mov_b32 s0, -1
	s_and_saveexec_b32 s20, vcc_lo
	s_cbranch_execz .LBB1_25
.LBB1_31:                               ;   in Loop: Header=BB1_26 Depth=2
	v_add_nc_u32_e32 v0, 64, v0
	s_delay_alu instid0(VALU_DEP_1)
	v_cmp_ge_i32_e32 vcc_lo, v0, v12
	s_or_not1_b32 s0, vcc_lo, exec_lo
	s_branch .LBB1_25
.LBB1_32:                               ;   in Loop: Header=BB1_13 Depth=1
	s_or_b32 exec_lo, exec_lo, s19
.LBB1_33:                               ;   in Loop: Header=BB1_13 Depth=1
	s_delay_alu instid0(SALU_CYCLE_1)
	s_or_b32 exec_lo, exec_lo, s6
	s_wait_dscnt 0x0
	ds_load_u8 v1, v20
	s_mov_b32 s6, exec_lo
	s_wait_dscnt 0x0
	v_and_b32_e32 v3, 1, v1
	v_cmp_ne_u16_e32 vcc_lo, 0, v1
	s_delay_alu instid0(VALU_DEP_2)
	v_cmpx_eq_u32_e32 1, v3
	s_cbranch_execz .LBB1_12
; %bb.34:                               ;   in Loop: Header=BB1_13 Depth=1
	ds_load_b32 v1, v14
	v_and_b32_e32 v3, vcc_lo, v4
	s_delay_alu instid0(VALU_DEP_1) | instskip(NEXT) | instid1(VALU_DEP_1)
	v_bcnt_u32_b32 v3, v3, 0
	v_add3_u32 v3, v13, v3, -1
	s_wait_dscnt 0x0
	s_wait_kmcnt 0x0
	global_store_b32 v3, v1, s[8:9] scale_offset
	s_branch .LBB1_12
.LBB1_35:
	s_endpgm
	.section	.rodata,"a",@progbits
	.p2align	6, 0x0
	.amdhsa_kernel _ZN9rocsparseL37csrgeam_fill_numeric_multipass_kernelILj256ELj64EiifEEvllNS_24const_host_device_scalarIT3_EEPKT1_PKT2_PKS2_S3_S6_S9_SB_S6_PS2_21rocsparse_index_base_SD_SD_bbb
		.amdhsa_group_segment_fixed_size 1280
		.amdhsa_private_segment_fixed_size 0
		.amdhsa_kernarg_size 112
		.amdhsa_user_sgpr_count 2
		.amdhsa_user_sgpr_dispatch_ptr 0
		.amdhsa_user_sgpr_queue_ptr 0
		.amdhsa_user_sgpr_kernarg_segment_ptr 1
		.amdhsa_user_sgpr_dispatch_id 0
		.amdhsa_user_sgpr_kernarg_preload_length 0
		.amdhsa_user_sgpr_kernarg_preload_offset 0
		.amdhsa_user_sgpr_private_segment_size 0
		.amdhsa_wavefront_size32 1
		.amdhsa_uses_dynamic_stack 0
		.amdhsa_enable_private_segment 0
		.amdhsa_system_sgpr_workgroup_id_x 1
		.amdhsa_system_sgpr_workgroup_id_y 0
		.amdhsa_system_sgpr_workgroup_id_z 0
		.amdhsa_system_sgpr_workgroup_info 0
		.amdhsa_system_vgpr_workitem_id 0
		.amdhsa_next_free_vgpr 26
		.amdhsa_next_free_sgpr 21
		.amdhsa_named_barrier_count 0
		.amdhsa_reserve_vcc 1
		.amdhsa_float_round_mode_32 0
		.amdhsa_float_round_mode_16_64 0
		.amdhsa_float_denorm_mode_32 3
		.amdhsa_float_denorm_mode_16_64 3
		.amdhsa_fp16_overflow 0
		.amdhsa_memory_ordered 1
		.amdhsa_forward_progress 1
		.amdhsa_inst_pref_size 13
		.amdhsa_round_robin_scheduling 0
		.amdhsa_exception_fp_ieee_invalid_op 0
		.amdhsa_exception_fp_denorm_src 0
		.amdhsa_exception_fp_ieee_div_zero 0
		.amdhsa_exception_fp_ieee_overflow 0
		.amdhsa_exception_fp_ieee_underflow 0
		.amdhsa_exception_fp_ieee_inexact 0
		.amdhsa_exception_int_div_zero 0
	.end_amdhsa_kernel
	.section	.text._ZN9rocsparseL37csrgeam_fill_numeric_multipass_kernelILj256ELj64EiifEEvllNS_24const_host_device_scalarIT3_EEPKT1_PKT2_PKS2_S3_S6_S9_SB_S6_PS2_21rocsparse_index_base_SD_SD_bbb,"axG",@progbits,_ZN9rocsparseL37csrgeam_fill_numeric_multipass_kernelILj256ELj64EiifEEvllNS_24const_host_device_scalarIT3_EEPKT1_PKT2_PKS2_S3_S6_S9_SB_S6_PS2_21rocsparse_index_base_SD_SD_bbb,comdat
.Lfunc_end1:
	.size	_ZN9rocsparseL37csrgeam_fill_numeric_multipass_kernelILj256ELj64EiifEEvllNS_24const_host_device_scalarIT3_EEPKT1_PKT2_PKS2_S3_S6_S9_SB_S6_PS2_21rocsparse_index_base_SD_SD_bbb, .Lfunc_end1-_ZN9rocsparseL37csrgeam_fill_numeric_multipass_kernelILj256ELj64EiifEEvllNS_24const_host_device_scalarIT3_EEPKT1_PKT2_PKS2_S3_S6_S9_SB_S6_PS2_21rocsparse_index_base_SD_SD_bbb
                                        ; -- End function
	.set _ZN9rocsparseL37csrgeam_fill_numeric_multipass_kernelILj256ELj64EiifEEvllNS_24const_host_device_scalarIT3_EEPKT1_PKT2_PKS2_S3_S6_S9_SB_S6_PS2_21rocsparse_index_base_SD_SD_bbb.num_vgpr, 26
	.set _ZN9rocsparseL37csrgeam_fill_numeric_multipass_kernelILj256ELj64EiifEEvllNS_24const_host_device_scalarIT3_EEPKT1_PKT2_PKS2_S3_S6_S9_SB_S6_PS2_21rocsparse_index_base_SD_SD_bbb.num_agpr, 0
	.set _ZN9rocsparseL37csrgeam_fill_numeric_multipass_kernelILj256ELj64EiifEEvllNS_24const_host_device_scalarIT3_EEPKT1_PKT2_PKS2_S3_S6_S9_SB_S6_PS2_21rocsparse_index_base_SD_SD_bbb.numbered_sgpr, 21
	.set _ZN9rocsparseL37csrgeam_fill_numeric_multipass_kernelILj256ELj64EiifEEvllNS_24const_host_device_scalarIT3_EEPKT1_PKT2_PKS2_S3_S6_S9_SB_S6_PS2_21rocsparse_index_base_SD_SD_bbb.num_named_barrier, 0
	.set _ZN9rocsparseL37csrgeam_fill_numeric_multipass_kernelILj256ELj64EiifEEvllNS_24const_host_device_scalarIT3_EEPKT1_PKT2_PKS2_S3_S6_S9_SB_S6_PS2_21rocsparse_index_base_SD_SD_bbb.private_seg_size, 0
	.set _ZN9rocsparseL37csrgeam_fill_numeric_multipass_kernelILj256ELj64EiifEEvllNS_24const_host_device_scalarIT3_EEPKT1_PKT2_PKS2_S3_S6_S9_SB_S6_PS2_21rocsparse_index_base_SD_SD_bbb.uses_vcc, 1
	.set _ZN9rocsparseL37csrgeam_fill_numeric_multipass_kernelILj256ELj64EiifEEvllNS_24const_host_device_scalarIT3_EEPKT1_PKT2_PKS2_S3_S6_S9_SB_S6_PS2_21rocsparse_index_base_SD_SD_bbb.uses_flat_scratch, 0
	.set _ZN9rocsparseL37csrgeam_fill_numeric_multipass_kernelILj256ELj64EiifEEvllNS_24const_host_device_scalarIT3_EEPKT1_PKT2_PKS2_S3_S6_S9_SB_S6_PS2_21rocsparse_index_base_SD_SD_bbb.has_dyn_sized_stack, 0
	.set _ZN9rocsparseL37csrgeam_fill_numeric_multipass_kernelILj256ELj64EiifEEvllNS_24const_host_device_scalarIT3_EEPKT1_PKT2_PKS2_S3_S6_S9_SB_S6_PS2_21rocsparse_index_base_SD_SD_bbb.has_recursion, 0
	.set _ZN9rocsparseL37csrgeam_fill_numeric_multipass_kernelILj256ELj64EiifEEvllNS_24const_host_device_scalarIT3_EEPKT1_PKT2_PKS2_S3_S6_S9_SB_S6_PS2_21rocsparse_index_base_SD_SD_bbb.has_indirect_call, 0
	.section	.AMDGPU.csdata,"",@progbits
; Kernel info:
; codeLenInByte = 1596
; TotalNumSgprs: 23
; NumVgprs: 26
; ScratchSize: 0
; MemoryBound: 0
; FloatMode: 240
; IeeeMode: 1
; LDSByteSize: 1280 bytes/workgroup (compile time only)
; SGPRBlocks: 0
; VGPRBlocks: 1
; NumSGPRsForWavesPerEU: 23
; NumVGPRsForWavesPerEU: 26
; NamedBarCnt: 0
; Occupancy: 16
; WaveLimiterHint : 1
; COMPUTE_PGM_RSRC2:SCRATCH_EN: 0
; COMPUTE_PGM_RSRC2:USER_SGPR: 2
; COMPUTE_PGM_RSRC2:TRAP_HANDLER: 0
; COMPUTE_PGM_RSRC2:TGID_X_EN: 1
; COMPUTE_PGM_RSRC2:TGID_Y_EN: 0
; COMPUTE_PGM_RSRC2:TGID_Z_EN: 0
; COMPUTE_PGM_RSRC2:TIDIG_COMP_CNT: 0
	.section	.text._ZN9rocsparseL37csrgeam_fill_numeric_multipass_kernelILj256ELj32ElifEEvllNS_24const_host_device_scalarIT3_EEPKT1_PKT2_PKS2_S3_S6_S9_SB_S6_PS2_21rocsparse_index_base_SD_SD_bbb,"axG",@progbits,_ZN9rocsparseL37csrgeam_fill_numeric_multipass_kernelILj256ELj32ElifEEvllNS_24const_host_device_scalarIT3_EEPKT1_PKT2_PKS2_S3_S6_S9_SB_S6_PS2_21rocsparse_index_base_SD_SD_bbb,comdat
	.globl	_ZN9rocsparseL37csrgeam_fill_numeric_multipass_kernelILj256ELj32ElifEEvllNS_24const_host_device_scalarIT3_EEPKT1_PKT2_PKS2_S3_S6_S9_SB_S6_PS2_21rocsparse_index_base_SD_SD_bbb ; -- Begin function _ZN9rocsparseL37csrgeam_fill_numeric_multipass_kernelILj256ELj32ElifEEvllNS_24const_host_device_scalarIT3_EEPKT1_PKT2_PKS2_S3_S6_S9_SB_S6_PS2_21rocsparse_index_base_SD_SD_bbb
	.p2align	8
	.type	_ZN9rocsparseL37csrgeam_fill_numeric_multipass_kernelILj256ELj32ElifEEvllNS_24const_host_device_scalarIT3_EEPKT1_PKT2_PKS2_S3_S6_S9_SB_S6_PS2_21rocsparse_index_base_SD_SD_bbb,@function
_ZN9rocsparseL37csrgeam_fill_numeric_multipass_kernelILj256ELj32ElifEEvllNS_24const_host_device_scalarIT3_EEPKT1_PKT2_PKS2_S3_S6_S9_SB_S6_PS2_21rocsparse_index_base_SD_SD_bbb: ; @_ZN9rocsparseL37csrgeam_fill_numeric_multipass_kernelILj256ELj32ElifEEvllNS_24const_host_device_scalarIT3_EEPKT1_PKT2_PKS2_S3_S6_S9_SB_S6_PS2_21rocsparse_index_base_SD_SD_bbb
; %bb.0:
	s_clause 0x4
	s_load_b128 s[4:7], s[0:1], 0x60
	s_load_b32 s14, s[0:1], 0x6c
	s_load_b64 s[12:13], s[0:1], 0x10
	s_load_b64 s[2:3], s[0:1], 0x30
	s_load_b128 s[8:11], s[0:1], 0x0
	s_wait_kmcnt 0x0
	s_and_b32 s15, 1, s7
	s_bitcmp1_b32 s14, 16
	s_cselect_b32 s7, -1, 0
	s_cmp_eq_u32 s15, 1
	s_cselect_b32 s15, -1, 0
	s_delay_alu instid0(SALU_CYCLE_1) | instskip(SKIP_2) | instid1(SALU_CYCLE_1)
	s_and_b32 s16, s15, exec_lo
	s_cselect_b32 s22, s12, 0
	s_xor_b32 s15, s15, -1
	s_or_b32 s15, s7, s15
	s_delay_alu instid0(SALU_CYCLE_1)
	s_and_b32 vcc_lo, exec_lo, s15
	s_cbranch_vccnz .LBB2_2
; %bb.1:
	s_load_b32 s22, s[12:13], 0x0
.LBB2_2:
	s_bitcmp1_b32 s14, 8
	s_wait_xcnt 0x0
	s_cselect_b32 s12, -1, 0
	s_delay_alu instid0(SALU_CYCLE_1) | instskip(SKIP_2) | instid1(SALU_CYCLE_1)
	s_and_b32 s13, s12, exec_lo
	s_cselect_b32 s23, s2, 0
	s_xor_b32 s12, s12, -1
	s_or_b32 s7, s7, s12
	s_delay_alu instid0(SALU_CYCLE_1)
	s_and_b32 vcc_lo, exec_lo, s7
	s_cbranch_vccnz .LBB2_4
; %bb.3:
	s_load_b32 s23, s[2:3], 0x0
.LBB2_4:
	s_wait_xcnt 0x0
	s_bfe_u32 s2, ttmp6, 0x4000c
	s_and_b32 s3, ttmp6, 15
	s_add_co_i32 s2, s2, 1
	s_getreg_b32 s7, hwreg(HW_REG_IB_STS2, 6, 4)
	s_mul_i32 s2, ttmp9, s2
	v_dual_lshrrev_b32 v1, 5, v0 :: v_dual_mov_b32 v13, 0
	s_add_co_i32 s3, s3, s2
	s_cmp_eq_u32 s7, 0
	s_mov_b32 s19, 0
	s_cselect_b32 s2, ttmp9, s3
	s_delay_alu instid0(SALU_CYCLE_1) | instskip(NEXT) | instid1(SALU_CYCLE_1)
	s_lshl_b32 s2, s2, 3
	v_and_or_b32 v12, 0x7fffff8, s2, v1
	s_mov_b32 s2, exec_lo
	s_delay_alu instid0(VALU_DEP_1)
	v_cmpx_gt_i64_e64 s[8:9], v[12:13]
	s_cbranch_execz .LBB2_35
; %bb.5:
	s_clause 0x2
	s_load_b64 s[2:3], s[0:1], 0x18
	s_load_b64 s[8:9], s[0:1], 0x38
	;; [unrolled: 1-line block ×3, first 2 shown]
	v_lshlrev_b32_e32 v1, 3, v12
	s_mov_b32 s18, s4
	s_wait_kmcnt 0x0
	s_clause 0x1
	global_load_b128 v[2:5], v1, s[2:3]
	global_load_b128 v[6:9], v1, s[8:9]
	global_load_b64 v[10:11], v12, s[12:13] scale_offset
	s_wait_xcnt 0x2
	s_mov_b32 s2, exec_lo
	s_wait_loadcnt 0x2
	s_wait_xcnt 0x0
	v_cmpx_ge_i64_e64 v[2:3], v[4:5]
	s_xor_b32 s2, exec_lo, s2
	s_delay_alu instid0(SALU_CYCLE_1)
	s_or_saveexec_b32 s7, s2
	s_load_b64 s[2:3], s[0:1], 0x20
	v_sub_nc_u64_e64 v[14:15], v[2:3], s[18:19]
	v_mov_b32_e32 v1, s10
	s_xor_b32 exec_lo, exec_lo, s7
	s_cbranch_execz .LBB2_7
; %bb.6:
	s_wait_kmcnt 0x0
	s_delay_alu instid0(VALU_DEP_2)
	v_lshl_add_u64 v[2:3], v[14:15], 2, s[2:3]
	global_load_b32 v1, v[2:3], off
	s_wait_loadcnt 0x0
	v_subrev_nc_u32_e32 v1, s4, v1
.LBB2_7:
	s_or_b32 exec_lo, exec_lo, s7
	v_mov_b32_e32 v18, s10
	s_mov_b32 s21, 0
	s_mov_b32 s20, s5
	s_mov_b32 s7, exec_lo
	s_wait_loadcnt 0x1
	v_cmpx_ge_i64_e64 v[6:7], v[8:9]
	s_xor_b32 s7, exec_lo, s7
; %bb.8:
	v_mov_b32_e32 v18, s10
; %bb.9:
	s_or_saveexec_b32 s7, s7
	s_load_b64 s[8:9], s[0:1], 0x40
	v_sub_nc_u64_e64 v[16:17], v[6:7], s[20:21]
	s_delay_alu instid0(VALU_DEP_2)
	v_mov_b32_e32 v12, v18
	s_xor_b32 exec_lo, exec_lo, s7
	s_cbranch_execz .LBB2_11
; %bb.10:
	s_wait_kmcnt 0x0
	s_delay_alu instid0(VALU_DEP_2)
	v_lshl_add_u64 v[2:3], v[16:17], 2, s[8:9]
	global_load_b32 v2, v[2:3], off
	s_wait_loadcnt 0x0
	v_subrev_nc_u32_e32 v12, s5, v2
.LBB2_11:
	s_or_b32 exec_lo, exec_lo, s7
	v_and_b32_e32 v2, 0xe0, v0
	s_delay_alu instid0(VALU_DEP_2) | instskip(SKIP_2) | instid1(VALU_DEP_4)
	v_dual_mov_b32 v7, 0 :: v_dual_min_i32 v12, v12, v1
	v_mbcnt_lo_u32_b32 v13, -1, 0
	v_bitop3_b32 v22, v0, 31, v0 bitop3:0xc
	v_dual_lshlrev_b32 v20, 2, v2 :: v_dual_bitop2_b32 v6, 31, v0 bitop3:0x40
	s_mov_b32 s7, 0
	v_or_b32_e32 v19, 0x400, v2
	v_sub_nc_u64_e64 v[2:3], v[4:5], s[18:19]
	v_sub_nc_u64_e64 v[4:5], v[8:9], s[20:21]
	v_add_nc_u64_e32 v[0:1], v[14:15], v[6:7]
	v_xor_b32_e32 v15, 8, v13
	v_xor_b32_e32 v14, 16, v13
	s_wait_loadcnt 0x0
	v_sub_nc_u64_e64 v[8:9], v[10:11], s[6:7]
	v_add_nc_u64_e32 v[10:11], v[16:17], v[6:7]
	s_clause 0x2
	s_load_b64 s[12:13], s[0:1], 0x58
	s_load_b64 s[14:15], s[0:1], 0x48
	;; [unrolled: 1-line block ×3, first 2 shown]
	v_lshl_or_b32 v21, v6, 2, v20
	v_cmp_gt_i32_e32 vcc_lo, 32, v14
	v_lshrrev_b32_e64 v22, v22, -1
	v_mov_b32_e32 v29, 1
	s_wait_xcnt 0x0
	s_mov_b32 s1, 0
	v_add_nc_u32_e32 v28, v19, v6
	v_cndmask_b32_e32 v14, v13, v14, vcc_lo
	v_cmp_gt_i32_e32 vcc_lo, 32, v15
	v_dual_cndmask_b32 v15, v13, v15, vcc_lo :: v_dual_bitop2_b32 v23, 1, v13 bitop3:0x14
	s_delay_alu instid0(VALU_DEP_1) | instskip(NEXT) | instid1(VALU_DEP_1)
	v_dual_lshlrev_b32 v24, 2, v15 :: v_dual_bitop2_b32 v16, 4, v13 bitop3:0x14
	v_cmp_gt_i32_e32 vcc_lo, 32, v16
	v_dual_cndmask_b32 v16, v13, v16, vcc_lo :: v_dual_bitop2_b32 v17, 2, v13 bitop3:0x14
	s_delay_alu instid0(VALU_DEP_1) | instskip(SKIP_3) | instid1(VALU_DEP_3)
	v_cmp_gt_i32_e32 vcc_lo, 32, v17
	v_cndmask_b32_e32 v17, v13, v17, vcc_lo
	v_cmp_gt_i32_e32 vcc_lo, 32, v23
	v_dual_cndmask_b32 v13, v13, v23, vcc_lo :: v_dual_lshlrev_b32 v23, 2, v14
	v_dual_lshlrev_b32 v25, 2, v16 :: v_dual_lshlrev_b32 v26, 2, v17
	s_delay_alu instid0(VALU_DEP_2)
	v_lshlrev_b32_e32 v27, 2, v13
	s_branch .LBB2_13
.LBB2_12:                               ;   in Loop: Header=BB2_13 Depth=1
	s_wait_xcnt 0x0
	s_or_b32 exec_lo, exec_lo, s6
	ds_bpermute_b32 v6, v23, v13
	s_bcnt1_i32_b32 s6, vcc_lo
	s_delay_alu instid0(SALU_CYCLE_1)
	v_add_nc_u64_e32 v[8:9], s[6:7], v[8:9]
	s_wait_dscnt 0x0
	v_min_i32_e32 v6, v6, v13
	ds_bpermute_b32 v12, v24, v6
	s_wait_dscnt 0x0
	v_min_i32_e32 v6, v12, v6
	ds_bpermute_b32 v12, v25, v6
	;; [unrolled: 3-line block ×4, first 2 shown]
	s_wait_dscnt 0x0
	v_min_i32_e32 v12, v12, v6
	s_delay_alu instid0(VALU_DEP_1) | instskip(NEXT) | instid1(VALU_DEP_1)
	v_ashrrev_i32_e32 v13, 31, v12
	v_cmp_le_i64_e64 s0, s[10:11], v[12:13]
	s_or_b32 s1, s0, s1
	s_delay_alu instid0(SALU_CYCLE_1)
	s_and_not1_b32 exec_lo, exec_lo, s1
	s_cbranch_execz .LBB2_35
.LBB2_13:                               ; =>This Loop Header: Depth=1
                                        ;     Child Loop BB2_16 Depth 2
                                        ;     Child Loop BB2_26 Depth 2
	v_mov_b32_e32 v13, v18
	s_mov_b32 s6, exec_lo
	ds_store_b8 v28, v7
	ds_store_b32 v21, v7
	s_wait_dscnt 0x0
	v_cmpx_lt_i64_e64 v[0:1], v[2:3]
	s_cbranch_execz .LBB2_23
; %bb.14:                               ;   in Loop: Header=BB2_13 Depth=1
	v_lshlrev_b64_e32 v[16:17], 2, v[0:1]
	v_mov_b32_e32 v13, v18
	s_mov_b32 s18, 0
	s_wait_kmcnt 0x0
	s_delay_alu instid0(VALU_DEP_2)
	v_add_nc_u64_e32 v[14:15], s[2:3], v[16:17]
	v_add_nc_u64_e32 v[16:17], s[16:17], v[16:17]
	s_branch .LBB2_16
.LBB2_15:                               ;   in Loop: Header=BB2_16 Depth=2
	s_or_b32 exec_lo, exec_lo, s19
	s_delay_alu instid0(SALU_CYCLE_1) | instskip(NEXT) | instid1(SALU_CYCLE_1)
	s_and_b32 s0, exec_lo, s0
	s_or_b32 s18, s0, s18
	s_delay_alu instid0(SALU_CYCLE_1)
	s_and_not1_b32 exec_lo, exec_lo, s18
	s_cbranch_execz .LBB2_22
.LBB2_16:                               ;   Parent Loop BB2_13 Depth=1
                                        ; =>  This Inner Loop Header: Depth=2
	global_load_b32 v6, v[14:15], off
	s_wait_loadcnt 0x0
	v_subrev_nc_u32_e32 v30, s4, v6
	s_delay_alu instid0(VALU_DEP_1) | instskip(NEXT) | instid1(VALU_DEP_1)
	v_sub_nc_u32_e32 v6, v30, v12
	v_cmp_lt_u32_e64 s0, 31, v6
	v_cmp_gt_u32_e32 vcc_lo, 32, v6
	s_wait_xcnt 0x0
	s_and_saveexec_b32 s19, s0
	s_delay_alu instid0(SALU_CYCLE_1)
	s_xor_b32 s0, exec_lo, s19
	s_cbranch_execnz .LBB2_19
; %bb.17:                               ;   in Loop: Header=BB2_16 Depth=2
	s_and_not1_saveexec_b32 s0, s0
	s_cbranch_execnz .LBB2_20
.LBB2_18:                               ;   in Loop: Header=BB2_16 Depth=2
	s_or_b32 exec_lo, exec_lo, s0
	s_mov_b32 s0, -1
	s_and_saveexec_b32 s19, vcc_lo
	s_cbranch_execz .LBB2_15
	s_branch .LBB2_21
.LBB2_19:                               ;   in Loop: Header=BB2_16 Depth=2
	v_min_i32_e32 v13, v30, v13
                                        ; implicit-def: $vgpr6
	s_and_not1_saveexec_b32 s0, s0
	s_cbranch_execz .LBB2_18
.LBB2_20:                               ;   in Loop: Header=BB2_16 Depth=2
	global_load_b32 v30, v[16:17], off
	v_add_nc_u32_e32 v31, v19, v6
	v_lshl_add_u32 v6, v6, 2, v20
	s_wait_loadcnt 0x0
	v_mul_f32_e32 v30, s22, v30
	ds_store_b8 v31, v29
	ds_store_b32 v6, v30
	s_wait_xcnt 0x0
	s_or_b32 exec_lo, exec_lo, s0
	s_mov_b32 s0, -1
	s_and_saveexec_b32 s19, vcc_lo
	s_cbranch_execz .LBB2_15
.LBB2_21:                               ;   in Loop: Header=BB2_16 Depth=2
	v_add_nc_u64_e32 v[0:1], 32, v[0:1]
	v_add_nc_u64_e32 v[14:15], 0x80, v[14:15]
	v_add_nc_u64_e32 v[16:17], 0x80, v[16:17]
	s_delay_alu instid0(VALU_DEP_3)
	v_cmp_ge_i64_e32 vcc_lo, v[0:1], v[2:3]
	s_or_not1_b32 s0, vcc_lo, exec_lo
	s_branch .LBB2_15
.LBB2_22:                               ;   in Loop: Header=BB2_13 Depth=1
	s_or_b32 exec_lo, exec_lo, s18
.LBB2_23:                               ;   in Loop: Header=BB2_13 Depth=1
	s_delay_alu instid0(SALU_CYCLE_1) | instskip(NEXT) | instid1(SALU_CYCLE_1)
	s_or_b32 exec_lo, exec_lo, s6
	s_mov_b32 s6, exec_lo
	s_wait_dscnt 0x0
	v_cmpx_lt_i64_e64 v[10:11], v[4:5]
	s_cbranch_execz .LBB2_33
; %bb.24:                               ;   in Loop: Header=BB2_13 Depth=1
	v_lshlrev_b64_e32 v[16:17], 2, v[10:11]
	s_mov_b32 s18, 0
	s_wait_kmcnt 0x0
	s_delay_alu instid0(VALU_DEP_1)
	v_add_nc_u64_e32 v[14:15], s[8:9], v[16:17]
	v_add_nc_u64_e32 v[16:17], s[14:15], v[16:17]
	s_branch .LBB2_26
.LBB2_25:                               ;   in Loop: Header=BB2_26 Depth=2
	s_or_b32 exec_lo, exec_lo, s19
	s_delay_alu instid0(SALU_CYCLE_1) | instskip(NEXT) | instid1(SALU_CYCLE_1)
	s_and_b32 s0, exec_lo, s0
	s_or_b32 s18, s0, s18
	s_delay_alu instid0(SALU_CYCLE_1)
	s_and_not1_b32 exec_lo, exec_lo, s18
	s_cbranch_execz .LBB2_32
.LBB2_26:                               ;   Parent Loop BB2_13 Depth=1
                                        ; =>  This Inner Loop Header: Depth=2
	global_load_b32 v6, v[14:15], off
	s_wait_loadcnt 0x0
	v_subrev_nc_u32_e32 v30, s5, v6
	s_delay_alu instid0(VALU_DEP_1) | instskip(NEXT) | instid1(VALU_DEP_1)
	v_sub_nc_u32_e32 v6, v30, v12
	v_cmp_lt_u32_e64 s0, 31, v6
	v_cmp_gt_u32_e32 vcc_lo, 32, v6
	s_wait_xcnt 0x0
	s_and_saveexec_b32 s19, s0
	s_delay_alu instid0(SALU_CYCLE_1)
	s_xor_b32 s0, exec_lo, s19
	s_cbranch_execnz .LBB2_29
; %bb.27:                               ;   in Loop: Header=BB2_26 Depth=2
	s_and_not1_saveexec_b32 s0, s0
	s_cbranch_execnz .LBB2_30
.LBB2_28:                               ;   in Loop: Header=BB2_26 Depth=2
	s_or_b32 exec_lo, exec_lo, s0
	s_mov_b32 s0, -1
	s_and_saveexec_b32 s19, vcc_lo
	s_cbranch_execz .LBB2_25
	s_branch .LBB2_31
.LBB2_29:                               ;   in Loop: Header=BB2_26 Depth=2
	v_min_i32_e32 v13, v30, v13
                                        ; implicit-def: $vgpr6
	s_and_not1_saveexec_b32 s0, s0
	s_cbranch_execz .LBB2_28
.LBB2_30:                               ;   in Loop: Header=BB2_26 Depth=2
	global_load_b32 v30, v[16:17], off
	v_lshl_add_u32 v31, v6, 2, v20
	v_add_nc_u32_e32 v6, v19, v6
	ds_load_b32 v32, v31
	s_wait_loadcnt_dscnt 0x0
	v_fmac_f32_e32 v32, s23, v30
	ds_store_b8 v6, v29
	ds_store_b32 v31, v32
	s_wait_xcnt 0x0
	s_or_b32 exec_lo, exec_lo, s0
	s_mov_b32 s0, -1
	s_and_saveexec_b32 s19, vcc_lo
	s_cbranch_execz .LBB2_25
.LBB2_31:                               ;   in Loop: Header=BB2_26 Depth=2
	v_add_nc_u64_e32 v[10:11], 32, v[10:11]
	v_add_nc_u64_e32 v[14:15], 0x80, v[14:15]
	;; [unrolled: 1-line block ×3, first 2 shown]
	s_delay_alu instid0(VALU_DEP_3)
	v_cmp_ge_i64_e32 vcc_lo, v[10:11], v[4:5]
	s_or_not1_b32 s0, vcc_lo, exec_lo
	s_branch .LBB2_25
.LBB2_32:                               ;   in Loop: Header=BB2_13 Depth=1
	s_or_b32 exec_lo, exec_lo, s18
.LBB2_33:                               ;   in Loop: Header=BB2_13 Depth=1
	s_delay_alu instid0(SALU_CYCLE_1)
	s_or_b32 exec_lo, exec_lo, s6
	s_wait_dscnt 0x0
	ds_load_u8 v6, v28
	s_mov_b32 s6, exec_lo
	s_wait_dscnt 0x0
	v_and_b32_e32 v12, 1, v6
	v_cmp_ne_u16_e32 vcc_lo, 0, v6
	s_delay_alu instid0(VALU_DEP_2)
	v_cmpx_eq_u32_e32 1, v12
	s_cbranch_execz .LBB2_12
; %bb.34:                               ;   in Loop: Header=BB2_13 Depth=1
	v_and_b32_e32 v6, vcc_lo, v22
	ds_load_b32 v12, v21
	s_wait_kmcnt 0x0
	v_lshl_add_u64 v[14:15], v[8:9], 2, s[12:13]
	v_bcnt_u32_b32 v6, v6, 0
	s_delay_alu instid0(VALU_DEP_1) | instskip(NEXT) | instid1(VALU_DEP_1)
	v_lshlrev_b32_e32 v6, 2, v6
	v_add_nc_u64_e32 v[14:15], v[14:15], v[6:7]
	s_wait_dscnt 0x0
	global_store_b32 v[14:15], v12, off offset:-4
	s_branch .LBB2_12
.LBB2_35:
	s_endpgm
	.section	.rodata,"a",@progbits
	.p2align	6, 0x0
	.amdhsa_kernel _ZN9rocsparseL37csrgeam_fill_numeric_multipass_kernelILj256ELj32ElifEEvllNS_24const_host_device_scalarIT3_EEPKT1_PKT2_PKS2_S3_S6_S9_SB_S6_PS2_21rocsparse_index_base_SD_SD_bbb
		.amdhsa_group_segment_fixed_size 1280
		.amdhsa_private_segment_fixed_size 0
		.amdhsa_kernarg_size 112
		.amdhsa_user_sgpr_count 2
		.amdhsa_user_sgpr_dispatch_ptr 0
		.amdhsa_user_sgpr_queue_ptr 0
		.amdhsa_user_sgpr_kernarg_segment_ptr 1
		.amdhsa_user_sgpr_dispatch_id 0
		.amdhsa_user_sgpr_kernarg_preload_length 0
		.amdhsa_user_sgpr_kernarg_preload_offset 0
		.amdhsa_user_sgpr_private_segment_size 0
		.amdhsa_wavefront_size32 1
		.amdhsa_uses_dynamic_stack 0
		.amdhsa_enable_private_segment 0
		.amdhsa_system_sgpr_workgroup_id_x 1
		.amdhsa_system_sgpr_workgroup_id_y 0
		.amdhsa_system_sgpr_workgroup_id_z 0
		.amdhsa_system_sgpr_workgroup_info 0
		.amdhsa_system_vgpr_workitem_id 0
		.amdhsa_next_free_vgpr 33
		.amdhsa_next_free_sgpr 24
		.amdhsa_named_barrier_count 0
		.amdhsa_reserve_vcc 1
		.amdhsa_float_round_mode_32 0
		.amdhsa_float_round_mode_16_64 0
		.amdhsa_float_denorm_mode_32 3
		.amdhsa_float_denorm_mode_16_64 3
		.amdhsa_fp16_overflow 0
		.amdhsa_memory_ordered 1
		.amdhsa_forward_progress 1
		.amdhsa_inst_pref_size 14
		.amdhsa_round_robin_scheduling 0
		.amdhsa_exception_fp_ieee_invalid_op 0
		.amdhsa_exception_fp_denorm_src 0
		.amdhsa_exception_fp_ieee_div_zero 0
		.amdhsa_exception_fp_ieee_overflow 0
		.amdhsa_exception_fp_ieee_underflow 0
		.amdhsa_exception_fp_ieee_inexact 0
		.amdhsa_exception_int_div_zero 0
	.end_amdhsa_kernel
	.section	.text._ZN9rocsparseL37csrgeam_fill_numeric_multipass_kernelILj256ELj32ElifEEvllNS_24const_host_device_scalarIT3_EEPKT1_PKT2_PKS2_S3_S6_S9_SB_S6_PS2_21rocsparse_index_base_SD_SD_bbb,"axG",@progbits,_ZN9rocsparseL37csrgeam_fill_numeric_multipass_kernelILj256ELj32ElifEEvllNS_24const_host_device_scalarIT3_EEPKT1_PKT2_PKS2_S3_S6_S9_SB_S6_PS2_21rocsparse_index_base_SD_SD_bbb,comdat
.Lfunc_end2:
	.size	_ZN9rocsparseL37csrgeam_fill_numeric_multipass_kernelILj256ELj32ElifEEvllNS_24const_host_device_scalarIT3_EEPKT1_PKT2_PKS2_S3_S6_S9_SB_S6_PS2_21rocsparse_index_base_SD_SD_bbb, .Lfunc_end2-_ZN9rocsparseL37csrgeam_fill_numeric_multipass_kernelILj256ELj32ElifEEvllNS_24const_host_device_scalarIT3_EEPKT1_PKT2_PKS2_S3_S6_S9_SB_S6_PS2_21rocsparse_index_base_SD_SD_bbb
                                        ; -- End function
	.set _ZN9rocsparseL37csrgeam_fill_numeric_multipass_kernelILj256ELj32ElifEEvllNS_24const_host_device_scalarIT3_EEPKT1_PKT2_PKS2_S3_S6_S9_SB_S6_PS2_21rocsparse_index_base_SD_SD_bbb.num_vgpr, 33
	.set _ZN9rocsparseL37csrgeam_fill_numeric_multipass_kernelILj256ELj32ElifEEvllNS_24const_host_device_scalarIT3_EEPKT1_PKT2_PKS2_S3_S6_S9_SB_S6_PS2_21rocsparse_index_base_SD_SD_bbb.num_agpr, 0
	.set _ZN9rocsparseL37csrgeam_fill_numeric_multipass_kernelILj256ELj32ElifEEvllNS_24const_host_device_scalarIT3_EEPKT1_PKT2_PKS2_S3_S6_S9_SB_S6_PS2_21rocsparse_index_base_SD_SD_bbb.numbered_sgpr, 24
	.set _ZN9rocsparseL37csrgeam_fill_numeric_multipass_kernelILj256ELj32ElifEEvllNS_24const_host_device_scalarIT3_EEPKT1_PKT2_PKS2_S3_S6_S9_SB_S6_PS2_21rocsparse_index_base_SD_SD_bbb.num_named_barrier, 0
	.set _ZN9rocsparseL37csrgeam_fill_numeric_multipass_kernelILj256ELj32ElifEEvllNS_24const_host_device_scalarIT3_EEPKT1_PKT2_PKS2_S3_S6_S9_SB_S6_PS2_21rocsparse_index_base_SD_SD_bbb.private_seg_size, 0
	.set _ZN9rocsparseL37csrgeam_fill_numeric_multipass_kernelILj256ELj32ElifEEvllNS_24const_host_device_scalarIT3_EEPKT1_PKT2_PKS2_S3_S6_S9_SB_S6_PS2_21rocsparse_index_base_SD_SD_bbb.uses_vcc, 1
	.set _ZN9rocsparseL37csrgeam_fill_numeric_multipass_kernelILj256ELj32ElifEEvllNS_24const_host_device_scalarIT3_EEPKT1_PKT2_PKS2_S3_S6_S9_SB_S6_PS2_21rocsparse_index_base_SD_SD_bbb.uses_flat_scratch, 0
	.set _ZN9rocsparseL37csrgeam_fill_numeric_multipass_kernelILj256ELj32ElifEEvllNS_24const_host_device_scalarIT3_EEPKT1_PKT2_PKS2_S3_S6_S9_SB_S6_PS2_21rocsparse_index_base_SD_SD_bbb.has_dyn_sized_stack, 0
	.set _ZN9rocsparseL37csrgeam_fill_numeric_multipass_kernelILj256ELj32ElifEEvllNS_24const_host_device_scalarIT3_EEPKT1_PKT2_PKS2_S3_S6_S9_SB_S6_PS2_21rocsparse_index_base_SD_SD_bbb.has_recursion, 0
	.set _ZN9rocsparseL37csrgeam_fill_numeric_multipass_kernelILj256ELj32ElifEEvllNS_24const_host_device_scalarIT3_EEPKT1_PKT2_PKS2_S3_S6_S9_SB_S6_PS2_21rocsparse_index_base_SD_SD_bbb.has_indirect_call, 0
	.section	.AMDGPU.csdata,"",@progbits
; Kernel info:
; codeLenInByte = 1680
; TotalNumSgprs: 26
; NumVgprs: 33
; ScratchSize: 0
; MemoryBound: 0
; FloatMode: 240
; IeeeMode: 1
; LDSByteSize: 1280 bytes/workgroup (compile time only)
; SGPRBlocks: 0
; VGPRBlocks: 2
; NumSGPRsForWavesPerEU: 26
; NumVGPRsForWavesPerEU: 33
; NamedBarCnt: 0
; Occupancy: 16
; WaveLimiterHint : 1
; COMPUTE_PGM_RSRC2:SCRATCH_EN: 0
; COMPUTE_PGM_RSRC2:USER_SGPR: 2
; COMPUTE_PGM_RSRC2:TRAP_HANDLER: 0
; COMPUTE_PGM_RSRC2:TGID_X_EN: 1
; COMPUTE_PGM_RSRC2:TGID_Y_EN: 0
; COMPUTE_PGM_RSRC2:TGID_Z_EN: 0
; COMPUTE_PGM_RSRC2:TIDIG_COMP_CNT: 0
	.section	.text._ZN9rocsparseL37csrgeam_fill_numeric_multipass_kernelILj256ELj64ElifEEvllNS_24const_host_device_scalarIT3_EEPKT1_PKT2_PKS2_S3_S6_S9_SB_S6_PS2_21rocsparse_index_base_SD_SD_bbb,"axG",@progbits,_ZN9rocsparseL37csrgeam_fill_numeric_multipass_kernelILj256ELj64ElifEEvllNS_24const_host_device_scalarIT3_EEPKT1_PKT2_PKS2_S3_S6_S9_SB_S6_PS2_21rocsparse_index_base_SD_SD_bbb,comdat
	.globl	_ZN9rocsparseL37csrgeam_fill_numeric_multipass_kernelILj256ELj64ElifEEvllNS_24const_host_device_scalarIT3_EEPKT1_PKT2_PKS2_S3_S6_S9_SB_S6_PS2_21rocsparse_index_base_SD_SD_bbb ; -- Begin function _ZN9rocsparseL37csrgeam_fill_numeric_multipass_kernelILj256ELj64ElifEEvllNS_24const_host_device_scalarIT3_EEPKT1_PKT2_PKS2_S3_S6_S9_SB_S6_PS2_21rocsparse_index_base_SD_SD_bbb
	.p2align	8
	.type	_ZN9rocsparseL37csrgeam_fill_numeric_multipass_kernelILj256ELj64ElifEEvllNS_24const_host_device_scalarIT3_EEPKT1_PKT2_PKS2_S3_S6_S9_SB_S6_PS2_21rocsparse_index_base_SD_SD_bbb,@function
_ZN9rocsparseL37csrgeam_fill_numeric_multipass_kernelILj256ELj64ElifEEvllNS_24const_host_device_scalarIT3_EEPKT1_PKT2_PKS2_S3_S6_S9_SB_S6_PS2_21rocsparse_index_base_SD_SD_bbb: ; @_ZN9rocsparseL37csrgeam_fill_numeric_multipass_kernelILj256ELj64ElifEEvllNS_24const_host_device_scalarIT3_EEPKT1_PKT2_PKS2_S3_S6_S9_SB_S6_PS2_21rocsparse_index_base_SD_SD_bbb
; %bb.0:
	s_clause 0x4
	s_load_b128 s[4:7], s[0:1], 0x60
	s_load_b32 s14, s[0:1], 0x6c
	s_load_b64 s[12:13], s[0:1], 0x10
	s_load_b64 s[2:3], s[0:1], 0x30
	s_load_b128 s[8:11], s[0:1], 0x0
	s_wait_kmcnt 0x0
	s_and_b32 s15, 1, s7
	s_bitcmp1_b32 s14, 16
	s_cselect_b32 s7, -1, 0
	s_cmp_eq_u32 s15, 1
	s_cselect_b32 s15, -1, 0
	s_delay_alu instid0(SALU_CYCLE_1) | instskip(SKIP_2) | instid1(SALU_CYCLE_1)
	s_and_b32 s16, s15, exec_lo
	s_cselect_b32 s22, s12, 0
	s_xor_b32 s15, s15, -1
	s_or_b32 s15, s7, s15
	s_delay_alu instid0(SALU_CYCLE_1)
	s_and_b32 vcc_lo, exec_lo, s15
	s_cbranch_vccnz .LBB3_2
; %bb.1:
	s_load_b32 s22, s[12:13], 0x0
.LBB3_2:
	s_bitcmp1_b32 s14, 8
	s_wait_xcnt 0x0
	s_cselect_b32 s12, -1, 0
	s_delay_alu instid0(SALU_CYCLE_1) | instskip(SKIP_2) | instid1(SALU_CYCLE_1)
	s_and_b32 s13, s12, exec_lo
	s_cselect_b32 s23, s2, 0
	s_xor_b32 s12, s12, -1
	s_or_b32 s7, s7, s12
	s_delay_alu instid0(SALU_CYCLE_1)
	s_and_b32 vcc_lo, exec_lo, s7
	s_cbranch_vccnz .LBB3_4
; %bb.3:
	s_load_b32 s23, s[2:3], 0x0
.LBB3_4:
	s_wait_xcnt 0x0
	s_bfe_u32 s2, ttmp6, 0x4000c
	s_and_b32 s3, ttmp6, 15
	s_add_co_i32 s2, s2, 1
	s_getreg_b32 s7, hwreg(HW_REG_IB_STS2, 6, 4)
	s_mul_i32 s2, ttmp9, s2
	v_dual_lshrrev_b32 v1, 6, v0 :: v_dual_mov_b32 v13, 0
	s_add_co_i32 s3, s3, s2
	s_cmp_eq_u32 s7, 0
	s_mov_b32 s19, 0
	s_cselect_b32 s2, ttmp9, s3
	s_delay_alu instid0(SALU_CYCLE_1) | instskip(NEXT) | instid1(SALU_CYCLE_1)
	s_lshl_b32 s2, s2, 2
	v_and_or_b32 v12, 0x3fffffc, s2, v1
	s_mov_b32 s2, exec_lo
	s_delay_alu instid0(VALU_DEP_1)
	v_cmpx_gt_i64_e64 s[8:9], v[12:13]
	s_cbranch_execz .LBB3_35
; %bb.5:
	s_clause 0x2
	s_load_b64 s[2:3], s[0:1], 0x18
	s_load_b64 s[8:9], s[0:1], 0x38
	;; [unrolled: 1-line block ×3, first 2 shown]
	v_lshlrev_b32_e32 v1, 3, v12
	s_mov_b32 s18, s4
	s_wait_kmcnt 0x0
	s_clause 0x1
	global_load_b128 v[6:9], v1, s[2:3]
	global_load_b128 v[2:5], v1, s[8:9]
	global_load_b64 v[10:11], v12, s[12:13] scale_offset
	s_wait_xcnt 0x2
	s_mov_b32 s2, exec_lo
	s_wait_loadcnt 0x2
	s_wait_xcnt 0x0
	v_cmpx_ge_i64_e64 v[6:7], v[8:9]
	s_xor_b32 s2, exec_lo, s2
	s_delay_alu instid0(SALU_CYCLE_1)
	s_or_saveexec_b32 s7, s2
	s_load_b64 s[2:3], s[0:1], 0x20
	v_sub_nc_u64_e64 v[12:13], v[6:7], s[18:19]
	v_mov_b32_e32 v1, s10
	s_xor_b32 exec_lo, exec_lo, s7
	s_cbranch_execz .LBB3_7
; %bb.6:
	s_wait_kmcnt 0x0
	s_delay_alu instid0(VALU_DEP_2)
	v_lshl_add_u64 v[6:7], v[12:13], 2, s[2:3]
	global_load_b32 v1, v[6:7], off
	s_wait_loadcnt 0x0
	v_subrev_nc_u32_e32 v1, s4, v1
.LBB3_7:
	s_or_b32 exec_lo, exec_lo, s7
	v_mov_b32_e32 v20, s10
	s_mov_b32 s21, 0
	s_mov_b32 s20, s5
	s_mov_b32 s7, exec_lo
	s_wait_loadcnt 0x1
	v_cmpx_ge_i64_e64 v[2:3], v[4:5]
	s_xor_b32 s7, exec_lo, s7
; %bb.8:
	v_mov_b32_e32 v20, s10
; %bb.9:
	s_or_saveexec_b32 s7, s7
	s_load_b64 s[8:9], s[0:1], 0x40
	v_sub_nc_u64_e64 v[16:17], v[2:3], s[20:21]
	s_delay_alu instid0(VALU_DEP_2)
	v_mov_b32_e32 v14, v20
	s_xor_b32 exec_lo, exec_lo, s7
	s_cbranch_execz .LBB3_11
; %bb.10:
	s_wait_kmcnt 0x0
	s_delay_alu instid0(VALU_DEP_2)
	v_lshl_add_u64 v[2:3], v[16:17], 2, s[8:9]
	global_load_b32 v2, v[2:3], off
	s_wait_loadcnt 0x0
	v_subrev_nc_u32_e32 v14, s5, v2
.LBB3_11:
	s_or_b32 exec_lo, exec_lo, s7
	v_mbcnt_lo_u32_b32 v15, -1, 0
	v_and_b32_e32 v2, 0xc0, v0
	v_mov_b32_e32 v7, 0
	s_mov_b32 s7, 0
	s_clause 0x2
	s_load_b64 s[12:13], s[0:1], 0x58
	s_load_b64 s[14:15], s[0:1], 0x48
	;; [unrolled: 1-line block ×3, first 2 shown]
	v_dual_lshlrev_b32 v22, 2, v2 :: v_dual_bitop2_b32 v18, 32, v15 bitop3:0x54
	v_and_b32_e32 v6, 63, v0
	v_or_b32_e32 v21, 0x400, v2
	v_sub_nc_u64_e64 v[2:3], v[8:9], s[18:19]
	s_delay_alu instid0(VALU_DEP_4)
	v_cmp_gt_i32_e32 vcc_lo, 32, v18
	s_wait_loadcnt 0x0
	v_sub_nc_u64_e64 v[8:9], v[10:11], s[6:7]
	v_add_nc_u64_e32 v[10:11], v[12:13], v[6:7]
	v_bitop3_b32 v12, v0, 63, v0 bitop3:0xc
	v_dual_cndmask_b32 v18, v15, v18, vcc_lo :: v_dual_min_i32 v14, v14, v1
	v_add_nc_u64_e32 v[0:1], v[16:17], v[6:7]
	v_xor_b32_e32 v16, 16, v15
	s_delay_alu instid0(VALU_DEP_4)
	v_lshrrev_b64 v[12:13], v12, -1
	v_sub_nc_u64_e64 v[4:5], v[4:5], s[20:21]
	v_lshlrev_b32_e32 v13, 2, v18
	v_lshl_or_b32 v23, v6, 2, v22
	v_cmp_gt_i32_e32 vcc_lo, 32, v16
	v_xor_b32_e32 v17, 8, v15
	s_wait_xcnt 0x0
	s_mov_b32 s1, 0
	v_dual_mov_b32 v30, 1 :: v_dual_add_nc_u32 v29, v21, v6
	v_cndmask_b32_e32 v16, v15, v16, vcc_lo
	v_cmp_gt_i32_e32 vcc_lo, 32, v17
	v_dual_cndmask_b32 v17, v15, v17, vcc_lo :: v_dual_bitop2_b32 v18, 4, v15 bitop3:0x14
	s_delay_alu instid0(VALU_DEP_1) | instskip(SKIP_1) | instid1(VALU_DEP_3)
	v_cmp_gt_i32_e32 vcc_lo, 32, v18
	v_xor_b32_e32 v19, 2, v15
	v_dual_lshlrev_b32 v25, 2, v17 :: v_dual_bitop2_b32 v24, 1, v15 bitop3:0x14
	v_cndmask_b32_e32 v18, v15, v18, vcc_lo
	s_delay_alu instid0(VALU_DEP_3) | instskip(NEXT) | instid1(VALU_DEP_2)
	v_cmp_gt_i32_e32 vcc_lo, 32, v19
	v_dual_cndmask_b32 v19, v15, v19 :: v_dual_lshlrev_b32 v26, 2, v18
	s_delay_alu instid0(VALU_DEP_4) | instskip(SKIP_1) | instid1(VALU_DEP_3)
	v_cmp_gt_i32_e32 vcc_lo, 32, v24
	v_cndmask_b32_e32 v15, v15, v24, vcc_lo
	v_dual_lshlrev_b32 v24, 2, v16 :: v_dual_lshlrev_b32 v27, 2, v19
	s_delay_alu instid0(VALU_DEP_2)
	v_lshlrev_b32_e32 v28, 2, v15
	s_branch .LBB3_13
.LBB3_12:                               ;   in Loop: Header=BB3_13 Depth=1
	s_wait_xcnt 0x0
	s_or_b32 exec_lo, exec_lo, s6
	ds_bpermute_b32 v6, v13, v15
	s_bcnt1_i32_b32 s6, vcc_lo
	s_delay_alu instid0(SALU_CYCLE_1)
	v_add_nc_u64_e32 v[8:9], s[6:7], v[8:9]
	s_wait_dscnt 0x0
	v_min_i32_e32 v6, v6, v15
	ds_bpermute_b32 v14, v24, v6
	s_wait_dscnt 0x0
	v_min_i32_e32 v6, v14, v6
	ds_bpermute_b32 v14, v25, v6
	;; [unrolled: 3-line block ×5, first 2 shown]
	s_wait_dscnt 0x0
	v_min_i32_e32 v14, v14, v6
	s_delay_alu instid0(VALU_DEP_1) | instskip(NEXT) | instid1(VALU_DEP_1)
	v_ashrrev_i32_e32 v15, 31, v14
	v_cmp_le_i64_e64 s0, s[10:11], v[14:15]
	s_or_b32 s1, s0, s1
	s_delay_alu instid0(SALU_CYCLE_1)
	s_and_not1_b32 exec_lo, exec_lo, s1
	s_cbranch_execz .LBB3_35
.LBB3_13:                               ; =>This Loop Header: Depth=1
                                        ;     Child Loop BB3_16 Depth 2
                                        ;     Child Loop BB3_26 Depth 2
	v_mov_b32_e32 v15, v20
	s_mov_b32 s6, exec_lo
	ds_store_b8 v29, v7
	ds_store_b32 v23, v7
	s_wait_dscnt 0x0
	v_cmpx_lt_i64_e64 v[10:11], v[2:3]
	s_cbranch_execz .LBB3_23
; %bb.14:                               ;   in Loop: Header=BB3_13 Depth=1
	v_lshlrev_b64_e32 v[18:19], 2, v[10:11]
	v_mov_b32_e32 v15, v20
	s_mov_b32 s18, 0
	s_wait_kmcnt 0x0
	s_delay_alu instid0(VALU_DEP_2)
	v_add_nc_u64_e32 v[16:17], s[2:3], v[18:19]
	v_add_nc_u64_e32 v[18:19], s[16:17], v[18:19]
	s_branch .LBB3_16
.LBB3_15:                               ;   in Loop: Header=BB3_16 Depth=2
	s_or_b32 exec_lo, exec_lo, s19
	s_delay_alu instid0(SALU_CYCLE_1) | instskip(NEXT) | instid1(SALU_CYCLE_1)
	s_and_b32 s0, exec_lo, s0
	s_or_b32 s18, s0, s18
	s_delay_alu instid0(SALU_CYCLE_1)
	s_and_not1_b32 exec_lo, exec_lo, s18
	s_cbranch_execz .LBB3_22
.LBB3_16:                               ;   Parent Loop BB3_13 Depth=1
                                        ; =>  This Inner Loop Header: Depth=2
	global_load_b32 v6, v[16:17], off
	s_wait_loadcnt 0x0
	v_subrev_nc_u32_e32 v31, s4, v6
	s_delay_alu instid0(VALU_DEP_1) | instskip(NEXT) | instid1(VALU_DEP_1)
	v_sub_nc_u32_e32 v6, v31, v14
	v_cmp_lt_u32_e64 s0, 63, v6
	v_cmp_gt_u32_e32 vcc_lo, 64, v6
	s_wait_xcnt 0x0
	s_and_saveexec_b32 s19, s0
	s_delay_alu instid0(SALU_CYCLE_1)
	s_xor_b32 s0, exec_lo, s19
	s_cbranch_execnz .LBB3_19
; %bb.17:                               ;   in Loop: Header=BB3_16 Depth=2
	s_and_not1_saveexec_b32 s0, s0
	s_cbranch_execnz .LBB3_20
.LBB3_18:                               ;   in Loop: Header=BB3_16 Depth=2
	s_or_b32 exec_lo, exec_lo, s0
	s_mov_b32 s0, -1
	s_and_saveexec_b32 s19, vcc_lo
	s_cbranch_execz .LBB3_15
	s_branch .LBB3_21
.LBB3_19:                               ;   in Loop: Header=BB3_16 Depth=2
	v_min_i32_e32 v15, v31, v15
                                        ; implicit-def: $vgpr6
	s_and_not1_saveexec_b32 s0, s0
	s_cbranch_execz .LBB3_18
.LBB3_20:                               ;   in Loop: Header=BB3_16 Depth=2
	global_load_b32 v31, v[18:19], off
	v_add_nc_u32_e32 v32, v21, v6
	v_lshl_add_u32 v6, v6, 2, v22
	s_wait_loadcnt 0x0
	v_mul_f32_e32 v31, s22, v31
	ds_store_b8 v32, v30
	ds_store_b32 v6, v31
	s_wait_xcnt 0x0
	s_or_b32 exec_lo, exec_lo, s0
	s_mov_b32 s0, -1
	s_and_saveexec_b32 s19, vcc_lo
	s_cbranch_execz .LBB3_15
.LBB3_21:                               ;   in Loop: Header=BB3_16 Depth=2
	v_add_nc_u64_e32 v[10:11], 64, v[10:11]
	v_add_nc_u64_e32 v[16:17], 0x100, v[16:17]
	;; [unrolled: 1-line block ×3, first 2 shown]
	s_delay_alu instid0(VALU_DEP_3)
	v_cmp_ge_i64_e32 vcc_lo, v[10:11], v[2:3]
	s_or_not1_b32 s0, vcc_lo, exec_lo
	s_branch .LBB3_15
.LBB3_22:                               ;   in Loop: Header=BB3_13 Depth=1
	s_or_b32 exec_lo, exec_lo, s18
.LBB3_23:                               ;   in Loop: Header=BB3_13 Depth=1
	s_delay_alu instid0(SALU_CYCLE_1) | instskip(NEXT) | instid1(SALU_CYCLE_1)
	s_or_b32 exec_lo, exec_lo, s6
	s_mov_b32 s6, exec_lo
	s_wait_dscnt 0x0
	v_cmpx_lt_i64_e64 v[0:1], v[4:5]
	s_cbranch_execz .LBB3_33
; %bb.24:                               ;   in Loop: Header=BB3_13 Depth=1
	v_lshlrev_b64_e32 v[18:19], 2, v[0:1]
	s_mov_b32 s18, 0
	s_wait_kmcnt 0x0
	s_delay_alu instid0(VALU_DEP_1)
	v_add_nc_u64_e32 v[16:17], s[8:9], v[18:19]
	v_add_nc_u64_e32 v[18:19], s[14:15], v[18:19]
	s_branch .LBB3_26
.LBB3_25:                               ;   in Loop: Header=BB3_26 Depth=2
	s_or_b32 exec_lo, exec_lo, s19
	s_delay_alu instid0(SALU_CYCLE_1) | instskip(NEXT) | instid1(SALU_CYCLE_1)
	s_and_b32 s0, exec_lo, s0
	s_or_b32 s18, s0, s18
	s_delay_alu instid0(SALU_CYCLE_1)
	s_and_not1_b32 exec_lo, exec_lo, s18
	s_cbranch_execz .LBB3_32
.LBB3_26:                               ;   Parent Loop BB3_13 Depth=1
                                        ; =>  This Inner Loop Header: Depth=2
	global_load_b32 v6, v[16:17], off
	s_wait_loadcnt 0x0
	v_subrev_nc_u32_e32 v31, s5, v6
	s_delay_alu instid0(VALU_DEP_1) | instskip(NEXT) | instid1(VALU_DEP_1)
	v_sub_nc_u32_e32 v6, v31, v14
	v_cmp_lt_u32_e64 s0, 63, v6
	v_cmp_gt_u32_e32 vcc_lo, 64, v6
	s_wait_xcnt 0x0
	s_and_saveexec_b32 s19, s0
	s_delay_alu instid0(SALU_CYCLE_1)
	s_xor_b32 s0, exec_lo, s19
	s_cbranch_execnz .LBB3_29
; %bb.27:                               ;   in Loop: Header=BB3_26 Depth=2
	s_and_not1_saveexec_b32 s0, s0
	s_cbranch_execnz .LBB3_30
.LBB3_28:                               ;   in Loop: Header=BB3_26 Depth=2
	s_or_b32 exec_lo, exec_lo, s0
	s_mov_b32 s0, -1
	s_and_saveexec_b32 s19, vcc_lo
	s_cbranch_execz .LBB3_25
	s_branch .LBB3_31
.LBB3_29:                               ;   in Loop: Header=BB3_26 Depth=2
	v_min_i32_e32 v15, v31, v15
                                        ; implicit-def: $vgpr6
	s_and_not1_saveexec_b32 s0, s0
	s_cbranch_execz .LBB3_28
.LBB3_30:                               ;   in Loop: Header=BB3_26 Depth=2
	global_load_b32 v31, v[18:19], off
	v_lshl_add_u32 v32, v6, 2, v22
	ds_load_b32 v33, v32
	s_wait_loadcnt_dscnt 0x0
	v_dual_fmac_f32 v33, s23, v31 :: v_dual_add_nc_u32 v6, v21, v6
	ds_store_b8 v6, v30
	ds_store_b32 v32, v33
	s_wait_xcnt 0x0
	s_or_b32 exec_lo, exec_lo, s0
	s_mov_b32 s0, -1
	s_and_saveexec_b32 s19, vcc_lo
	s_cbranch_execz .LBB3_25
.LBB3_31:                               ;   in Loop: Header=BB3_26 Depth=2
	v_add_nc_u64_e32 v[0:1], 64, v[0:1]
	v_add_nc_u64_e32 v[16:17], 0x100, v[16:17]
	v_add_nc_u64_e32 v[18:19], 0x100, v[18:19]
	s_delay_alu instid0(VALU_DEP_3)
	v_cmp_ge_i64_e32 vcc_lo, v[0:1], v[4:5]
	s_or_not1_b32 s0, vcc_lo, exec_lo
	s_branch .LBB3_25
.LBB3_32:                               ;   in Loop: Header=BB3_13 Depth=1
	s_or_b32 exec_lo, exec_lo, s18
.LBB3_33:                               ;   in Loop: Header=BB3_13 Depth=1
	s_delay_alu instid0(SALU_CYCLE_1)
	s_or_b32 exec_lo, exec_lo, s6
	s_wait_dscnt 0x0
	ds_load_u8 v6, v29
	s_mov_b32 s6, exec_lo
	s_wait_dscnt 0x0
	v_and_b32_e32 v14, 1, v6
	v_cmp_ne_u16_e32 vcc_lo, 0, v6
	s_delay_alu instid0(VALU_DEP_2)
	v_cmpx_eq_u32_e32 1, v14
	s_cbranch_execz .LBB3_12
; %bb.34:                               ;   in Loop: Header=BB3_13 Depth=1
	v_and_b32_e32 v6, vcc_lo, v12
	ds_load_b32 v14, v23
	s_wait_kmcnt 0x0
	v_lshl_add_u64 v[16:17], v[8:9], 2, s[12:13]
	v_bcnt_u32_b32 v6, v6, 0
	s_delay_alu instid0(VALU_DEP_1) | instskip(NEXT) | instid1(VALU_DEP_1)
	v_lshlrev_b32_e32 v6, 2, v6
	v_add_nc_u64_e32 v[16:17], v[16:17], v[6:7]
	s_wait_dscnt 0x0
	global_store_b32 v[16:17], v14, off offset:-4
	s_branch .LBB3_12
.LBB3_35:
	s_endpgm
	.section	.rodata,"a",@progbits
	.p2align	6, 0x0
	.amdhsa_kernel _ZN9rocsparseL37csrgeam_fill_numeric_multipass_kernelILj256ELj64ElifEEvllNS_24const_host_device_scalarIT3_EEPKT1_PKT2_PKS2_S3_S6_S9_SB_S6_PS2_21rocsparse_index_base_SD_SD_bbb
		.amdhsa_group_segment_fixed_size 1280
		.amdhsa_private_segment_fixed_size 0
		.amdhsa_kernarg_size 112
		.amdhsa_user_sgpr_count 2
		.amdhsa_user_sgpr_dispatch_ptr 0
		.amdhsa_user_sgpr_queue_ptr 0
		.amdhsa_user_sgpr_kernarg_segment_ptr 1
		.amdhsa_user_sgpr_dispatch_id 0
		.amdhsa_user_sgpr_kernarg_preload_length 0
		.amdhsa_user_sgpr_kernarg_preload_offset 0
		.amdhsa_user_sgpr_private_segment_size 0
		.amdhsa_wavefront_size32 1
		.amdhsa_uses_dynamic_stack 0
		.amdhsa_enable_private_segment 0
		.amdhsa_system_sgpr_workgroup_id_x 1
		.amdhsa_system_sgpr_workgroup_id_y 0
		.amdhsa_system_sgpr_workgroup_id_z 0
		.amdhsa_system_sgpr_workgroup_info 0
		.amdhsa_system_vgpr_workitem_id 0
		.amdhsa_next_free_vgpr 34
		.amdhsa_next_free_sgpr 24
		.amdhsa_named_barrier_count 0
		.amdhsa_reserve_vcc 1
		.amdhsa_float_round_mode_32 0
		.amdhsa_float_round_mode_16_64 0
		.amdhsa_float_denorm_mode_32 3
		.amdhsa_float_denorm_mode_16_64 3
		.amdhsa_fp16_overflow 0
		.amdhsa_memory_ordered 1
		.amdhsa_forward_progress 1
		.amdhsa_inst_pref_size 14
		.amdhsa_round_robin_scheduling 0
		.amdhsa_exception_fp_ieee_invalid_op 0
		.amdhsa_exception_fp_denorm_src 0
		.amdhsa_exception_fp_ieee_div_zero 0
		.amdhsa_exception_fp_ieee_overflow 0
		.amdhsa_exception_fp_ieee_underflow 0
		.amdhsa_exception_fp_ieee_inexact 0
		.amdhsa_exception_int_div_zero 0
	.end_amdhsa_kernel
	.section	.text._ZN9rocsparseL37csrgeam_fill_numeric_multipass_kernelILj256ELj64ElifEEvllNS_24const_host_device_scalarIT3_EEPKT1_PKT2_PKS2_S3_S6_S9_SB_S6_PS2_21rocsparse_index_base_SD_SD_bbb,"axG",@progbits,_ZN9rocsparseL37csrgeam_fill_numeric_multipass_kernelILj256ELj64ElifEEvllNS_24const_host_device_scalarIT3_EEPKT1_PKT2_PKS2_S3_S6_S9_SB_S6_PS2_21rocsparse_index_base_SD_SD_bbb,comdat
.Lfunc_end3:
	.size	_ZN9rocsparseL37csrgeam_fill_numeric_multipass_kernelILj256ELj64ElifEEvllNS_24const_host_device_scalarIT3_EEPKT1_PKT2_PKS2_S3_S6_S9_SB_S6_PS2_21rocsparse_index_base_SD_SD_bbb, .Lfunc_end3-_ZN9rocsparseL37csrgeam_fill_numeric_multipass_kernelILj256ELj64ElifEEvllNS_24const_host_device_scalarIT3_EEPKT1_PKT2_PKS2_S3_S6_S9_SB_S6_PS2_21rocsparse_index_base_SD_SD_bbb
                                        ; -- End function
	.set _ZN9rocsparseL37csrgeam_fill_numeric_multipass_kernelILj256ELj64ElifEEvllNS_24const_host_device_scalarIT3_EEPKT1_PKT2_PKS2_S3_S6_S9_SB_S6_PS2_21rocsparse_index_base_SD_SD_bbb.num_vgpr, 34
	.set _ZN9rocsparseL37csrgeam_fill_numeric_multipass_kernelILj256ELj64ElifEEvllNS_24const_host_device_scalarIT3_EEPKT1_PKT2_PKS2_S3_S6_S9_SB_S6_PS2_21rocsparse_index_base_SD_SD_bbb.num_agpr, 0
	.set _ZN9rocsparseL37csrgeam_fill_numeric_multipass_kernelILj256ELj64ElifEEvllNS_24const_host_device_scalarIT3_EEPKT1_PKT2_PKS2_S3_S6_S9_SB_S6_PS2_21rocsparse_index_base_SD_SD_bbb.numbered_sgpr, 24
	.set _ZN9rocsparseL37csrgeam_fill_numeric_multipass_kernelILj256ELj64ElifEEvllNS_24const_host_device_scalarIT3_EEPKT1_PKT2_PKS2_S3_S6_S9_SB_S6_PS2_21rocsparse_index_base_SD_SD_bbb.num_named_barrier, 0
	.set _ZN9rocsparseL37csrgeam_fill_numeric_multipass_kernelILj256ELj64ElifEEvllNS_24const_host_device_scalarIT3_EEPKT1_PKT2_PKS2_S3_S6_S9_SB_S6_PS2_21rocsparse_index_base_SD_SD_bbb.private_seg_size, 0
	.set _ZN9rocsparseL37csrgeam_fill_numeric_multipass_kernelILj256ELj64ElifEEvllNS_24const_host_device_scalarIT3_EEPKT1_PKT2_PKS2_S3_S6_S9_SB_S6_PS2_21rocsparse_index_base_SD_SD_bbb.uses_vcc, 1
	.set _ZN9rocsparseL37csrgeam_fill_numeric_multipass_kernelILj256ELj64ElifEEvllNS_24const_host_device_scalarIT3_EEPKT1_PKT2_PKS2_S3_S6_S9_SB_S6_PS2_21rocsparse_index_base_SD_SD_bbb.uses_flat_scratch, 0
	.set _ZN9rocsparseL37csrgeam_fill_numeric_multipass_kernelILj256ELj64ElifEEvllNS_24const_host_device_scalarIT3_EEPKT1_PKT2_PKS2_S3_S6_S9_SB_S6_PS2_21rocsparse_index_base_SD_SD_bbb.has_dyn_sized_stack, 0
	.set _ZN9rocsparseL37csrgeam_fill_numeric_multipass_kernelILj256ELj64ElifEEvllNS_24const_host_device_scalarIT3_EEPKT1_PKT2_PKS2_S3_S6_S9_SB_S6_PS2_21rocsparse_index_base_SD_SD_bbb.has_recursion, 0
	.set _ZN9rocsparseL37csrgeam_fill_numeric_multipass_kernelILj256ELj64ElifEEvllNS_24const_host_device_scalarIT3_EEPKT1_PKT2_PKS2_S3_S6_S9_SB_S6_PS2_21rocsparse_index_base_SD_SD_bbb.has_indirect_call, 0
	.section	.AMDGPU.csdata,"",@progbits
; Kernel info:
; codeLenInByte = 1716
; TotalNumSgprs: 26
; NumVgprs: 34
; ScratchSize: 0
; MemoryBound: 0
; FloatMode: 240
; IeeeMode: 1
; LDSByteSize: 1280 bytes/workgroup (compile time only)
; SGPRBlocks: 0
; VGPRBlocks: 2
; NumSGPRsForWavesPerEU: 26
; NumVGPRsForWavesPerEU: 34
; NamedBarCnt: 0
; Occupancy: 16
; WaveLimiterHint : 1
; COMPUTE_PGM_RSRC2:SCRATCH_EN: 0
; COMPUTE_PGM_RSRC2:USER_SGPR: 2
; COMPUTE_PGM_RSRC2:TRAP_HANDLER: 0
; COMPUTE_PGM_RSRC2:TGID_X_EN: 1
; COMPUTE_PGM_RSRC2:TGID_Y_EN: 0
; COMPUTE_PGM_RSRC2:TGID_Z_EN: 0
; COMPUTE_PGM_RSRC2:TIDIG_COMP_CNT: 0
	.section	.text._ZN9rocsparseL37csrgeam_fill_numeric_multipass_kernelILj256ELj32EllfEEvllNS_24const_host_device_scalarIT3_EEPKT1_PKT2_PKS2_S3_S6_S9_SB_S6_PS2_21rocsparse_index_base_SD_SD_bbb,"axG",@progbits,_ZN9rocsparseL37csrgeam_fill_numeric_multipass_kernelILj256ELj32EllfEEvllNS_24const_host_device_scalarIT3_EEPKT1_PKT2_PKS2_S3_S6_S9_SB_S6_PS2_21rocsparse_index_base_SD_SD_bbb,comdat
	.globl	_ZN9rocsparseL37csrgeam_fill_numeric_multipass_kernelILj256ELj32EllfEEvllNS_24const_host_device_scalarIT3_EEPKT1_PKT2_PKS2_S3_S6_S9_SB_S6_PS2_21rocsparse_index_base_SD_SD_bbb ; -- Begin function _ZN9rocsparseL37csrgeam_fill_numeric_multipass_kernelILj256ELj32EllfEEvllNS_24const_host_device_scalarIT3_EEPKT1_PKT2_PKS2_S3_S6_S9_SB_S6_PS2_21rocsparse_index_base_SD_SD_bbb
	.p2align	8
	.type	_ZN9rocsparseL37csrgeam_fill_numeric_multipass_kernelILj256ELj32EllfEEvllNS_24const_host_device_scalarIT3_EEPKT1_PKT2_PKS2_S3_S6_S9_SB_S6_PS2_21rocsparse_index_base_SD_SD_bbb,@function
_ZN9rocsparseL37csrgeam_fill_numeric_multipass_kernelILj256ELj32EllfEEvllNS_24const_host_device_scalarIT3_EEPKT1_PKT2_PKS2_S3_S6_S9_SB_S6_PS2_21rocsparse_index_base_SD_SD_bbb: ; @_ZN9rocsparseL37csrgeam_fill_numeric_multipass_kernelILj256ELj32EllfEEvllNS_24const_host_device_scalarIT3_EEPKT1_PKT2_PKS2_S3_S6_S9_SB_S6_PS2_21rocsparse_index_base_SD_SD_bbb
; %bb.0:
	s_clause 0x4
	s_load_b128 s[4:7], s[0:1], 0x60
	s_load_b32 s14, s[0:1], 0x6c
	s_load_b64 s[12:13], s[0:1], 0x10
	s_load_b64 s[2:3], s[0:1], 0x30
	s_load_b128 s[8:11], s[0:1], 0x0
	s_wait_kmcnt 0x0
	s_and_b32 s15, 1, s7
	s_bitcmp1_b32 s14, 16
	s_cselect_b32 s7, -1, 0
	s_cmp_eq_u32 s15, 1
	s_cselect_b32 s15, -1, 0
	s_delay_alu instid0(SALU_CYCLE_1) | instskip(SKIP_2) | instid1(SALU_CYCLE_1)
	s_and_b32 s16, s15, exec_lo
	s_cselect_b32 s20, s12, 0
	s_xor_b32 s15, s15, -1
	s_or_b32 s15, s7, s15
	s_delay_alu instid0(SALU_CYCLE_1)
	s_and_b32 vcc_lo, exec_lo, s15
	s_cbranch_vccnz .LBB4_2
; %bb.1:
	s_load_b32 s20, s[12:13], 0x0
.LBB4_2:
	s_bitcmp1_b32 s14, 8
	s_wait_xcnt 0x0
	s_cselect_b32 s12, -1, 0
	s_delay_alu instid0(SALU_CYCLE_1) | instskip(SKIP_2) | instid1(SALU_CYCLE_1)
	s_and_b32 s13, s12, exec_lo
	s_cselect_b32 s21, s2, 0
	s_xor_b32 s12, s12, -1
	s_or_b32 s7, s7, s12
	s_delay_alu instid0(SALU_CYCLE_1)
	s_and_b32 vcc_lo, exec_lo, s7
	s_cbranch_vccnz .LBB4_4
; %bb.3:
	s_load_b32 s21, s[2:3], 0x0
.LBB4_4:
	s_wait_xcnt 0x0
	s_bfe_u32 s2, ttmp6, 0x4000c
	s_and_b32 s3, ttmp6, 15
	s_add_co_i32 s2, s2, 1
	s_getreg_b32 s7, hwreg(HW_REG_IB_STS2, 6, 4)
	s_mul_i32 s2, ttmp9, s2
	v_dual_lshrrev_b32 v1, 5, v0 :: v_dual_mov_b32 v13, 0
	s_add_co_i32 s3, s3, s2
	s_cmp_eq_u32 s7, 0
	s_cselect_b32 s2, ttmp9, s3
	s_mov_b32 s3, 0
	s_lshl_b32 s2, s2, 3
	s_delay_alu instid0(SALU_CYCLE_1) | instskip(SKIP_1) | instid1(VALU_DEP_1)
	v_and_or_b32 v12, 0x7fffff8, s2, v1
	s_mov_b32 s2, exec_lo
	v_cmpx_gt_i64_e64 s[8:9], v[12:13]
	s_cbranch_execz .LBB4_33
; %bb.5:
	s_clause 0x2
	s_load_b128 s[12:15], s[0:1], 0x18
	s_load_b64 s[8:9], s[0:1], 0x38
	s_load_b64 s[16:17], s[0:1], 0x50
	v_lshlrev_b32_e32 v1, 3, v12
	s_mov_b32 s2, s4
	s_mov_b32 s4, exec_lo
	s_wait_kmcnt 0x0
	s_clause 0x1
	global_load_b128 v[2:5], v1, s[12:13]
	global_load_b128 v[6:9], v1, s[8:9]
	global_load_b64 v[10:11], v12, s[16:17] scale_offset
	s_wait_xcnt 0x0
	v_mov_b64_e32 v[12:13], s[10:11]
	s_wait_loadcnt 0x2
	v_sub_nc_u64_e64 v[14:15], v[2:3], s[2:3]
	v_cmpx_lt_i64_e64 v[2:3], v[4:5]
	s_cbranch_execz .LBB4_7
; %bb.6:
	s_delay_alu instid0(VALU_DEP_2)
	v_lshl_add_u64 v[2:3], v[14:15], 3, s[14:15]
	global_load_b64 v[2:3], v[2:3], off
	s_wait_loadcnt 0x0
	v_sub_nc_u64_e64 v[12:13], v[2:3], s[2:3]
.LBB4_7:
	s_or_b32 exec_lo, exec_lo, s4
	s_load_b64 s[8:9], s[0:1], 0x40
	s_mov_b32 s7, 0
	s_mov_b32 s4, s5
	;; [unrolled: 1-line block ×3, first 2 shown]
	v_mov_b64_e32 v[18:19], s[10:11]
	s_wait_loadcnt 0x1
	v_sub_nc_u64_e64 v[16:17], v[6:7], s[4:5]
	s_mov_b32 s12, exec_lo
	v_cmpx_lt_i64_e64 v[6:7], v[8:9]
	s_cbranch_execz .LBB4_9
; %bb.8:
	s_wait_kmcnt 0x0
	s_delay_alu instid0(VALU_DEP_2)
	v_lshl_add_u64 v[2:3], v[16:17], 3, s[8:9]
	global_load_b64 v[2:3], v[2:3], off
	s_wait_loadcnt 0x0
	v_sub_nc_u64_e64 v[18:19], v[2:3], s[4:5]
.LBB4_9:
	s_or_b32 exec_lo, exec_lo, s12
	v_and_b32_e32 v1, 0xe0, v0
	v_mbcnt_lo_u32_b32 v20, -1, 0
	v_mov_b32_e32 v7, 0
	s_delay_alu instid0(VALU_DEP_4)
	v_min_i64 v[12:13], v[18:19], v[12:13]
	v_bitop3_b32 v18, v0, 31, v0 bitop3:0xc
	v_dual_lshlrev_b32 v25, 2, v1 :: v_dual_bitop2_b32 v6, 31, v0 bitop3:0x40
	v_or_b32_e32 v24, 0x400, v1
	v_sub_nc_u64_e64 v[2:3], v[4:5], s[2:3]
	v_sub_nc_u64_e64 v[4:5], v[8:9], s[4:5]
	s_wait_loadcnt 0x0
	v_sub_nc_u64_e64 v[8:9], v[10:11], s[6:7]
	v_add_nc_u64_e32 v[0:1], v[14:15], v[6:7]
	v_xor_b32_e32 v14, 16, v20
	v_add_nc_u64_e32 v[10:11], v[16:17], v[6:7]
	v_lshrrev_b32_e64 v27, v18, -1
	v_xor_b32_e32 v18, 1, v20
	v_xor_b32_e32 v17, 2, v20
	v_cmp_gt_i32_e32 vcc_lo, 32, v14
	v_xor_b32_e32 v15, 8, v20
	s_clause 0x2
	s_load_b64 s[12:13], s[0:1], 0x58
	s_load_b64 s[16:17], s[0:1], 0x48
	;; [unrolled: 1-line block ×3, first 2 shown]
	v_lshl_or_b32 v26, v6, 2, v25
	v_dual_mov_b32 v34, 1 :: v_dual_add_nc_u32 v33, v24, v6
	v_cndmask_b32_e32 v14, v20, v14, vcc_lo
	v_cmp_gt_i32_e32 vcc_lo, 32, v15
	v_xor_b32_e32 v16, 4, v20
	s_wait_xcnt 0x0
	s_mov_b32 s1, 0
	v_dual_cndmask_b32 v15, v20, v15 :: v_dual_lshlrev_b32 v28, 2, v14
	s_delay_alu instid0(VALU_DEP_2) | instskip(SKIP_2) | instid1(VALU_DEP_2)
	v_cmp_gt_i32_e32 vcc_lo, 32, v16
	v_cndmask_b32_e32 v16, v20, v16, vcc_lo
	v_cmp_gt_i32_e32 vcc_lo, 32, v17
	v_dual_lshlrev_b32 v29, 2, v15 :: v_dual_lshlrev_b32 v30, 2, v16
	v_cndmask_b32_e32 v17, v20, v17, vcc_lo
	v_cmp_gt_i32_e32 vcc_lo, 32, v18
	s_delay_alu instid0(VALU_DEP_2) | instskip(NEXT) | instid1(VALU_DEP_1)
	v_dual_cndmask_b32 v18, v20, v18 :: v_dual_lshlrev_b32 v31, 2, v17
	v_lshlrev_b32_e32 v32, 2, v18
	s_branch .LBB4_11
.LBB4_10:                               ;   in Loop: Header=BB4_11 Depth=1
	s_wait_xcnt 0x0
	s_or_b32 exec_lo, exec_lo, s6
	ds_bpermute_b32 v12, v28, v14
	ds_bpermute_b32 v13, v28, v15
	s_bcnt1_i32_b32 s6, vcc_lo
	s_delay_alu instid0(SALU_CYCLE_1)
	v_add_nc_u64_e32 v[8:9], s[6:7], v[8:9]
	s_wait_dscnt 0x0
	v_min_i64 v[12:13], v[12:13], v[14:15]
	ds_bpermute_b32 v14, v29, v12
	ds_bpermute_b32 v15, v29, v13
	s_wait_dscnt 0x0
	v_min_i64 v[12:13], v[14:15], v[12:13]
	ds_bpermute_b32 v14, v30, v12
	ds_bpermute_b32 v15, v30, v13
	;; [unrolled: 4-line block ×4, first 2 shown]
	s_wait_dscnt 0x0
	v_min_i64 v[12:13], v[14:15], v[12:13]
	s_delay_alu instid0(VALU_DEP_1) | instskip(SKIP_1) | instid1(SALU_CYCLE_1)
	v_cmp_le_i64_e64 s0, s[10:11], v[12:13]
	s_or_b32 s1, s0, s1
	s_and_not1_b32 exec_lo, exec_lo, s1
	s_cbranch_execz .LBB4_33
.LBB4_11:                               ; =>This Loop Header: Depth=1
                                        ;     Child Loop BB4_14 Depth 2
                                        ;     Child Loop BB4_24 Depth 2
	v_mov_b64_e32 v[14:15], s[10:11]
	s_mov_b32 s6, exec_lo
	ds_store_b8 v33, v7
	ds_store_b32 v26, v7
	s_wait_dscnt 0x0
	v_cmpx_lt_i64_e64 v[0:1], v[2:3]
	s_cbranch_execz .LBB4_21
; %bb.12:                               ;   in Loop: Header=BB4_11 Depth=1
	v_mov_b64_e32 v[14:15], s[10:11]
	v_lshl_add_u64 v[16:17], v[0:1], 3, s[14:15]
	s_wait_kmcnt 0x0
	v_lshl_add_u64 v[18:19], v[0:1], 2, s[18:19]
	s_mov_b32 s22, 0
	s_branch .LBB4_14
.LBB4_13:                               ;   in Loop: Header=BB4_14 Depth=2
	s_or_b32 exec_lo, exec_lo, s23
	s_delay_alu instid0(SALU_CYCLE_1) | instskip(NEXT) | instid1(SALU_CYCLE_1)
	s_and_b32 s0, exec_lo, s0
	s_or_b32 s22, s0, s22
	s_delay_alu instid0(SALU_CYCLE_1)
	s_and_not1_b32 exec_lo, exec_lo, s22
	s_cbranch_execz .LBB4_20
.LBB4_14:                               ;   Parent Loop BB4_11 Depth=1
                                        ; =>  This Inner Loop Header: Depth=2
	global_load_b64 v[20:21], v[16:17], off
	s_wait_loadcnt 0x0
	v_sub_nc_u64_e64 v[22:23], v[20:21], s[2:3]
	s_delay_alu instid0(VALU_DEP_1) | instskip(NEXT) | instid1(VALU_DEP_1)
	v_sub_nc_u64_e32 v[20:21], v[22:23], v[12:13]
	v_cmp_lt_i64_e64 s0, 31, v[20:21]
	v_cmp_gt_i64_e32 vcc_lo, 32, v[20:21]
	s_wait_xcnt 0x0
	s_and_saveexec_b32 s23, s0
	s_delay_alu instid0(SALU_CYCLE_1)
	s_xor_b32 s0, exec_lo, s23
	s_cbranch_execnz .LBB4_17
; %bb.15:                               ;   in Loop: Header=BB4_14 Depth=2
	s_and_not1_saveexec_b32 s0, s0
	s_cbranch_execnz .LBB4_18
.LBB4_16:                               ;   in Loop: Header=BB4_14 Depth=2
	s_or_b32 exec_lo, exec_lo, s0
	s_mov_b32 s0, -1
	s_and_saveexec_b32 s23, vcc_lo
	s_cbranch_execz .LBB4_13
	s_branch .LBB4_19
.LBB4_17:                               ;   in Loop: Header=BB4_14 Depth=2
	v_min_i64 v[14:15], v[22:23], v[14:15]
                                        ; implicit-def: $vgpr20_vgpr21
	s_and_not1_saveexec_b32 s0, s0
	s_cbranch_execz .LBB4_16
.LBB4_18:                               ;   in Loop: Header=BB4_14 Depth=2
	global_load_b32 v6, v[18:19], off
	v_add_nc_u32_e32 v21, v24, v20
	v_lshl_add_u32 v20, v20, 2, v25
	s_wait_loadcnt 0x0
	v_mul_f32_e32 v6, s20, v6
	ds_store_b8 v21, v34
	ds_store_b32 v20, v6
	s_wait_xcnt 0x0
	s_or_b32 exec_lo, exec_lo, s0
	s_mov_b32 s0, -1
	s_and_saveexec_b32 s23, vcc_lo
	s_cbranch_execz .LBB4_13
.LBB4_19:                               ;   in Loop: Header=BB4_14 Depth=2
	v_add_nc_u64_e32 v[0:1], 32, v[0:1]
	v_add_nc_u64_e32 v[16:17], 0x100, v[16:17]
	;; [unrolled: 1-line block ×3, first 2 shown]
	s_delay_alu instid0(VALU_DEP_3)
	v_cmp_ge_i64_e32 vcc_lo, v[0:1], v[2:3]
	s_or_not1_b32 s0, vcc_lo, exec_lo
	s_branch .LBB4_13
.LBB4_20:                               ;   in Loop: Header=BB4_11 Depth=1
	s_or_b32 exec_lo, exec_lo, s22
.LBB4_21:                               ;   in Loop: Header=BB4_11 Depth=1
	s_delay_alu instid0(SALU_CYCLE_1) | instskip(NEXT) | instid1(SALU_CYCLE_1)
	s_or_b32 exec_lo, exec_lo, s6
	s_mov_b32 s6, exec_lo
	s_wait_dscnt 0x0
	v_cmpx_lt_i64_e64 v[10:11], v[4:5]
	s_cbranch_execz .LBB4_31
; %bb.22:                               ;   in Loop: Header=BB4_11 Depth=1
	s_wait_kmcnt 0x0
	v_lshl_add_u64 v[16:17], v[10:11], 3, s[8:9]
	v_lshl_add_u64 v[18:19], v[10:11], 2, s[16:17]
	s_mov_b32 s22, 0
	s_branch .LBB4_24
.LBB4_23:                               ;   in Loop: Header=BB4_24 Depth=2
	s_or_b32 exec_lo, exec_lo, s23
	s_delay_alu instid0(SALU_CYCLE_1) | instskip(NEXT) | instid1(SALU_CYCLE_1)
	s_and_b32 s0, exec_lo, s0
	s_or_b32 s22, s0, s22
	s_delay_alu instid0(SALU_CYCLE_1)
	s_and_not1_b32 exec_lo, exec_lo, s22
	s_cbranch_execz .LBB4_30
.LBB4_24:                               ;   Parent Loop BB4_11 Depth=1
                                        ; =>  This Inner Loop Header: Depth=2
	global_load_b64 v[20:21], v[16:17], off
	s_wait_loadcnt 0x0
	v_sub_nc_u64_e64 v[22:23], v[20:21], s[4:5]
	s_delay_alu instid0(VALU_DEP_1) | instskip(NEXT) | instid1(VALU_DEP_1)
	v_sub_nc_u64_e32 v[20:21], v[22:23], v[12:13]
	v_cmp_lt_i64_e64 s0, 31, v[20:21]
	v_cmp_gt_i64_e32 vcc_lo, 32, v[20:21]
	s_wait_xcnt 0x0
	s_and_saveexec_b32 s23, s0
	s_delay_alu instid0(SALU_CYCLE_1)
	s_xor_b32 s0, exec_lo, s23
	s_cbranch_execnz .LBB4_27
; %bb.25:                               ;   in Loop: Header=BB4_24 Depth=2
	s_and_not1_saveexec_b32 s0, s0
	s_cbranch_execnz .LBB4_28
.LBB4_26:                               ;   in Loop: Header=BB4_24 Depth=2
	s_or_b32 exec_lo, exec_lo, s0
	s_mov_b32 s0, -1
	s_and_saveexec_b32 s23, vcc_lo
	s_cbranch_execz .LBB4_23
	s_branch .LBB4_29
.LBB4_27:                               ;   in Loop: Header=BB4_24 Depth=2
	v_min_i64 v[14:15], v[22:23], v[14:15]
                                        ; implicit-def: $vgpr20_vgpr21
	s_and_not1_saveexec_b32 s0, s0
	s_cbranch_execz .LBB4_26
.LBB4_28:                               ;   in Loop: Header=BB4_24 Depth=2
	global_load_b32 v6, v[18:19], off
	v_lshl_add_u32 v21, v20, 2, v25
	ds_load_b32 v22, v21
	s_wait_loadcnt_dscnt 0x0
	v_dual_add_nc_u32 v20, v24, v20 :: v_dual_fmac_f32 v22, s21, v6
	ds_store_b8 v20, v34
	ds_store_b32 v21, v22
	s_wait_xcnt 0x0
	s_or_b32 exec_lo, exec_lo, s0
	s_mov_b32 s0, -1
	s_and_saveexec_b32 s23, vcc_lo
	s_cbranch_execz .LBB4_23
.LBB4_29:                               ;   in Loop: Header=BB4_24 Depth=2
	v_add_nc_u64_e32 v[10:11], 32, v[10:11]
	v_add_nc_u64_e32 v[16:17], 0x100, v[16:17]
	v_add_nc_u64_e32 v[18:19], 0x80, v[18:19]
	s_delay_alu instid0(VALU_DEP_3)
	v_cmp_ge_i64_e32 vcc_lo, v[10:11], v[4:5]
	s_or_not1_b32 s0, vcc_lo, exec_lo
	s_branch .LBB4_23
.LBB4_30:                               ;   in Loop: Header=BB4_11 Depth=1
	s_or_b32 exec_lo, exec_lo, s22
.LBB4_31:                               ;   in Loop: Header=BB4_11 Depth=1
	s_delay_alu instid0(SALU_CYCLE_1)
	s_or_b32 exec_lo, exec_lo, s6
	s_wait_dscnt 0x0
	ds_load_u8 v6, v33
	s_mov_b32 s6, exec_lo
	s_wait_dscnt 0x0
	v_and_b32_e32 v12, 1, v6
	v_cmp_ne_u16_e32 vcc_lo, 0, v6
	s_delay_alu instid0(VALU_DEP_2)
	v_cmpx_eq_u32_e32 1, v12
	s_cbranch_execz .LBB4_10
; %bb.32:                               ;   in Loop: Header=BB4_11 Depth=1
	v_and_b32_e32 v6, vcc_lo, v27
	ds_load_b32 v16, v26
	s_wait_kmcnt 0x0
	v_lshl_add_u64 v[12:13], v[8:9], 2, s[12:13]
	v_bcnt_u32_b32 v6, v6, 0
	s_delay_alu instid0(VALU_DEP_1) | instskip(NEXT) | instid1(VALU_DEP_1)
	v_lshlrev_b32_e32 v6, 2, v6
	v_add_nc_u64_e32 v[12:13], v[12:13], v[6:7]
	s_wait_dscnt 0x0
	global_store_b32 v[12:13], v16, off offset:-4
	s_branch .LBB4_10
.LBB4_33:
	s_endpgm
	.section	.rodata,"a",@progbits
	.p2align	6, 0x0
	.amdhsa_kernel _ZN9rocsparseL37csrgeam_fill_numeric_multipass_kernelILj256ELj32EllfEEvllNS_24const_host_device_scalarIT3_EEPKT1_PKT2_PKS2_S3_S6_S9_SB_S6_PS2_21rocsparse_index_base_SD_SD_bbb
		.amdhsa_group_segment_fixed_size 1280
		.amdhsa_private_segment_fixed_size 0
		.amdhsa_kernarg_size 112
		.amdhsa_user_sgpr_count 2
		.amdhsa_user_sgpr_dispatch_ptr 0
		.amdhsa_user_sgpr_queue_ptr 0
		.amdhsa_user_sgpr_kernarg_segment_ptr 1
		.amdhsa_user_sgpr_dispatch_id 0
		.amdhsa_user_sgpr_kernarg_preload_length 0
		.amdhsa_user_sgpr_kernarg_preload_offset 0
		.amdhsa_user_sgpr_private_segment_size 0
		.amdhsa_wavefront_size32 1
		.amdhsa_uses_dynamic_stack 0
		.amdhsa_enable_private_segment 0
		.amdhsa_system_sgpr_workgroup_id_x 1
		.amdhsa_system_sgpr_workgroup_id_y 0
		.amdhsa_system_sgpr_workgroup_id_z 0
		.amdhsa_system_sgpr_workgroup_info 0
		.amdhsa_system_vgpr_workitem_id 0
		.amdhsa_next_free_vgpr 35
		.amdhsa_next_free_sgpr 24
		.amdhsa_named_barrier_count 0
		.amdhsa_reserve_vcc 1
		.amdhsa_float_round_mode_32 0
		.amdhsa_float_round_mode_16_64 0
		.amdhsa_float_denorm_mode_32 3
		.amdhsa_float_denorm_mode_16_64 3
		.amdhsa_fp16_overflow 0
		.amdhsa_memory_ordered 1
		.amdhsa_forward_progress 1
		.amdhsa_inst_pref_size 14
		.amdhsa_round_robin_scheduling 0
		.amdhsa_exception_fp_ieee_invalid_op 0
		.amdhsa_exception_fp_denorm_src 0
		.amdhsa_exception_fp_ieee_div_zero 0
		.amdhsa_exception_fp_ieee_overflow 0
		.amdhsa_exception_fp_ieee_underflow 0
		.amdhsa_exception_fp_ieee_inexact 0
		.amdhsa_exception_int_div_zero 0
	.end_amdhsa_kernel
	.section	.text._ZN9rocsparseL37csrgeam_fill_numeric_multipass_kernelILj256ELj32EllfEEvllNS_24const_host_device_scalarIT3_EEPKT1_PKT2_PKS2_S3_S6_S9_SB_S6_PS2_21rocsparse_index_base_SD_SD_bbb,"axG",@progbits,_ZN9rocsparseL37csrgeam_fill_numeric_multipass_kernelILj256ELj32EllfEEvllNS_24const_host_device_scalarIT3_EEPKT1_PKT2_PKS2_S3_S6_S9_SB_S6_PS2_21rocsparse_index_base_SD_SD_bbb,comdat
.Lfunc_end4:
	.size	_ZN9rocsparseL37csrgeam_fill_numeric_multipass_kernelILj256ELj32EllfEEvllNS_24const_host_device_scalarIT3_EEPKT1_PKT2_PKS2_S3_S6_S9_SB_S6_PS2_21rocsparse_index_base_SD_SD_bbb, .Lfunc_end4-_ZN9rocsparseL37csrgeam_fill_numeric_multipass_kernelILj256ELj32EllfEEvllNS_24const_host_device_scalarIT3_EEPKT1_PKT2_PKS2_S3_S6_S9_SB_S6_PS2_21rocsparse_index_base_SD_SD_bbb
                                        ; -- End function
	.set _ZN9rocsparseL37csrgeam_fill_numeric_multipass_kernelILj256ELj32EllfEEvllNS_24const_host_device_scalarIT3_EEPKT1_PKT2_PKS2_S3_S6_S9_SB_S6_PS2_21rocsparse_index_base_SD_SD_bbb.num_vgpr, 35
	.set _ZN9rocsparseL37csrgeam_fill_numeric_multipass_kernelILj256ELj32EllfEEvllNS_24const_host_device_scalarIT3_EEPKT1_PKT2_PKS2_S3_S6_S9_SB_S6_PS2_21rocsparse_index_base_SD_SD_bbb.num_agpr, 0
	.set _ZN9rocsparseL37csrgeam_fill_numeric_multipass_kernelILj256ELj32EllfEEvllNS_24const_host_device_scalarIT3_EEPKT1_PKT2_PKS2_S3_S6_S9_SB_S6_PS2_21rocsparse_index_base_SD_SD_bbb.numbered_sgpr, 24
	.set _ZN9rocsparseL37csrgeam_fill_numeric_multipass_kernelILj256ELj32EllfEEvllNS_24const_host_device_scalarIT3_EEPKT1_PKT2_PKS2_S3_S6_S9_SB_S6_PS2_21rocsparse_index_base_SD_SD_bbb.num_named_barrier, 0
	.set _ZN9rocsparseL37csrgeam_fill_numeric_multipass_kernelILj256ELj32EllfEEvllNS_24const_host_device_scalarIT3_EEPKT1_PKT2_PKS2_S3_S6_S9_SB_S6_PS2_21rocsparse_index_base_SD_SD_bbb.private_seg_size, 0
	.set _ZN9rocsparseL37csrgeam_fill_numeric_multipass_kernelILj256ELj32EllfEEvllNS_24const_host_device_scalarIT3_EEPKT1_PKT2_PKS2_S3_S6_S9_SB_S6_PS2_21rocsparse_index_base_SD_SD_bbb.uses_vcc, 1
	.set _ZN9rocsparseL37csrgeam_fill_numeric_multipass_kernelILj256ELj32EllfEEvllNS_24const_host_device_scalarIT3_EEPKT1_PKT2_PKS2_S3_S6_S9_SB_S6_PS2_21rocsparse_index_base_SD_SD_bbb.uses_flat_scratch, 0
	.set _ZN9rocsparseL37csrgeam_fill_numeric_multipass_kernelILj256ELj32EllfEEvllNS_24const_host_device_scalarIT3_EEPKT1_PKT2_PKS2_S3_S6_S9_SB_S6_PS2_21rocsparse_index_base_SD_SD_bbb.has_dyn_sized_stack, 0
	.set _ZN9rocsparseL37csrgeam_fill_numeric_multipass_kernelILj256ELj32EllfEEvllNS_24const_host_device_scalarIT3_EEPKT1_PKT2_PKS2_S3_S6_S9_SB_S6_PS2_21rocsparse_index_base_SD_SD_bbb.has_recursion, 0
	.set _ZN9rocsparseL37csrgeam_fill_numeric_multipass_kernelILj256ELj32EllfEEvllNS_24const_host_device_scalarIT3_EEPKT1_PKT2_PKS2_S3_S6_S9_SB_S6_PS2_21rocsparse_index_base_SD_SD_bbb.has_indirect_call, 0
	.section	.AMDGPU.csdata,"",@progbits
; Kernel info:
; codeLenInByte = 1684
; TotalNumSgprs: 26
; NumVgprs: 35
; ScratchSize: 0
; MemoryBound: 0
; FloatMode: 240
; IeeeMode: 1
; LDSByteSize: 1280 bytes/workgroup (compile time only)
; SGPRBlocks: 0
; VGPRBlocks: 2
; NumSGPRsForWavesPerEU: 26
; NumVGPRsForWavesPerEU: 35
; NamedBarCnt: 0
; Occupancy: 16
; WaveLimiterHint : 1
; COMPUTE_PGM_RSRC2:SCRATCH_EN: 0
; COMPUTE_PGM_RSRC2:USER_SGPR: 2
; COMPUTE_PGM_RSRC2:TRAP_HANDLER: 0
; COMPUTE_PGM_RSRC2:TGID_X_EN: 1
; COMPUTE_PGM_RSRC2:TGID_Y_EN: 0
; COMPUTE_PGM_RSRC2:TGID_Z_EN: 0
; COMPUTE_PGM_RSRC2:TIDIG_COMP_CNT: 0
	.section	.text._ZN9rocsparseL37csrgeam_fill_numeric_multipass_kernelILj256ELj64EllfEEvllNS_24const_host_device_scalarIT3_EEPKT1_PKT2_PKS2_S3_S6_S9_SB_S6_PS2_21rocsparse_index_base_SD_SD_bbb,"axG",@progbits,_ZN9rocsparseL37csrgeam_fill_numeric_multipass_kernelILj256ELj64EllfEEvllNS_24const_host_device_scalarIT3_EEPKT1_PKT2_PKS2_S3_S6_S9_SB_S6_PS2_21rocsparse_index_base_SD_SD_bbb,comdat
	.globl	_ZN9rocsparseL37csrgeam_fill_numeric_multipass_kernelILj256ELj64EllfEEvllNS_24const_host_device_scalarIT3_EEPKT1_PKT2_PKS2_S3_S6_S9_SB_S6_PS2_21rocsparse_index_base_SD_SD_bbb ; -- Begin function _ZN9rocsparseL37csrgeam_fill_numeric_multipass_kernelILj256ELj64EllfEEvllNS_24const_host_device_scalarIT3_EEPKT1_PKT2_PKS2_S3_S6_S9_SB_S6_PS2_21rocsparse_index_base_SD_SD_bbb
	.p2align	8
	.type	_ZN9rocsparseL37csrgeam_fill_numeric_multipass_kernelILj256ELj64EllfEEvllNS_24const_host_device_scalarIT3_EEPKT1_PKT2_PKS2_S3_S6_S9_SB_S6_PS2_21rocsparse_index_base_SD_SD_bbb,@function
_ZN9rocsparseL37csrgeam_fill_numeric_multipass_kernelILj256ELj64EllfEEvllNS_24const_host_device_scalarIT3_EEPKT1_PKT2_PKS2_S3_S6_S9_SB_S6_PS2_21rocsparse_index_base_SD_SD_bbb: ; @_ZN9rocsparseL37csrgeam_fill_numeric_multipass_kernelILj256ELj64EllfEEvllNS_24const_host_device_scalarIT3_EEPKT1_PKT2_PKS2_S3_S6_S9_SB_S6_PS2_21rocsparse_index_base_SD_SD_bbb
; %bb.0:
	s_clause 0x4
	s_load_b128 s[4:7], s[0:1], 0x60
	s_load_b32 s14, s[0:1], 0x6c
	s_load_b64 s[12:13], s[0:1], 0x10
	s_load_b64 s[2:3], s[0:1], 0x30
	s_load_b128 s[8:11], s[0:1], 0x0
	s_wait_kmcnt 0x0
	s_and_b32 s15, 1, s7
	s_bitcmp1_b32 s14, 16
	s_cselect_b32 s7, -1, 0
	s_cmp_eq_u32 s15, 1
	s_cselect_b32 s15, -1, 0
	s_delay_alu instid0(SALU_CYCLE_1) | instskip(SKIP_2) | instid1(SALU_CYCLE_1)
	s_and_b32 s16, s15, exec_lo
	s_cselect_b32 s20, s12, 0
	s_xor_b32 s15, s15, -1
	s_or_b32 s15, s7, s15
	s_delay_alu instid0(SALU_CYCLE_1)
	s_and_b32 vcc_lo, exec_lo, s15
	s_cbranch_vccnz .LBB5_2
; %bb.1:
	s_load_b32 s20, s[12:13], 0x0
.LBB5_2:
	s_bitcmp1_b32 s14, 8
	s_wait_xcnt 0x0
	s_cselect_b32 s12, -1, 0
	s_delay_alu instid0(SALU_CYCLE_1) | instskip(SKIP_2) | instid1(SALU_CYCLE_1)
	s_and_b32 s13, s12, exec_lo
	s_cselect_b32 s21, s2, 0
	s_xor_b32 s12, s12, -1
	s_or_b32 s7, s7, s12
	s_delay_alu instid0(SALU_CYCLE_1)
	s_and_b32 vcc_lo, exec_lo, s7
	s_cbranch_vccnz .LBB5_4
; %bb.3:
	s_load_b32 s21, s[2:3], 0x0
.LBB5_4:
	s_wait_xcnt 0x0
	s_bfe_u32 s2, ttmp6, 0x4000c
	s_and_b32 s3, ttmp6, 15
	s_add_co_i32 s2, s2, 1
	s_getreg_b32 s7, hwreg(HW_REG_IB_STS2, 6, 4)
	s_mul_i32 s2, ttmp9, s2
	v_dual_lshrrev_b32 v1, 6, v0 :: v_dual_mov_b32 v13, 0
	s_add_co_i32 s3, s3, s2
	s_cmp_eq_u32 s7, 0
	s_cselect_b32 s2, ttmp9, s3
	s_mov_b32 s3, 0
	s_lshl_b32 s2, s2, 2
	s_delay_alu instid0(SALU_CYCLE_1) | instskip(SKIP_1) | instid1(VALU_DEP_1)
	v_and_or_b32 v12, 0x3fffffc, s2, v1
	s_mov_b32 s2, exec_lo
	v_cmpx_gt_i64_e64 s[8:9], v[12:13]
	s_cbranch_execz .LBB5_33
; %bb.5:
	s_clause 0x2
	s_load_b128 s[12:15], s[0:1], 0x18
	s_load_b64 s[8:9], s[0:1], 0x38
	s_load_b64 s[16:17], s[0:1], 0x50
	v_lshlrev_b32_e32 v1, 3, v12
	s_mov_b32 s2, s4
	v_mov_b64_e32 v[14:15], s[10:11]
	s_mov_b32 s4, exec_lo
	s_wait_kmcnt 0x0
	s_clause 0x1
	global_load_b128 v[2:5], v1, s[12:13]
	global_load_b128 v[6:9], v1, s[8:9]
	global_load_b64 v[10:11], v12, s[16:17] scale_offset
	s_wait_loadcnt 0x2
	s_wait_xcnt 0x0
	v_sub_nc_u64_e64 v[12:13], v[2:3], s[2:3]
	v_cmpx_lt_i64_e64 v[2:3], v[4:5]
	s_cbranch_execz .LBB5_7
; %bb.6:
	s_delay_alu instid0(VALU_DEP_2)
	v_lshl_add_u64 v[2:3], v[12:13], 3, s[14:15]
	global_load_b64 v[2:3], v[2:3], off
	s_wait_loadcnt 0x0
	v_sub_nc_u64_e64 v[14:15], v[2:3], s[2:3]
.LBB5_7:
	s_or_b32 exec_lo, exec_lo, s4
	s_load_b64 s[8:9], s[0:1], 0x40
	s_mov_b32 s7, 0
	s_mov_b32 s4, s5
	s_mov_b32 s5, s7
	v_mov_b64_e32 v[18:19], s[10:11]
	s_wait_loadcnt 0x1
	v_sub_nc_u64_e64 v[16:17], v[6:7], s[4:5]
	s_mov_b32 s12, exec_lo
	v_cmpx_lt_i64_e64 v[6:7], v[8:9]
	s_cbranch_execz .LBB5_9
; %bb.8:
	s_wait_kmcnt 0x0
	s_delay_alu instid0(VALU_DEP_2)
	v_lshl_add_u64 v[2:3], v[16:17], 3, s[8:9]
	global_load_b64 v[2:3], v[2:3], off
	s_wait_loadcnt 0x0
	v_sub_nc_u64_e64 v[18:19], v[2:3], s[4:5]
.LBB5_9:
	s_or_b32 exec_lo, exec_lo, s12
	v_and_b32_e32 v1, 0xc0, v0
	v_mbcnt_lo_u32_b32 v20, -1, 0
	v_sub_nc_u64_e64 v[2:3], v[4:5], s[2:3]
	v_mov_b32_e32 v5, 0
	v_sub_nc_u64_e64 v[6:7], v[8:9], s[4:5]
	v_or_b32_e32 v26, 0x400, v1
	v_dual_lshlrev_b32 v27, 2, v1 :: v_dual_bitop2_b32 v4, 63, v0 bitop3:0x40
	v_or_b32_e32 v1, 32, v20
	s_wait_loadcnt 0x0
	v_sub_nc_u64_e64 v[8:9], v[10:11], s[6:7]
	v_min_i64 v[14:15], v[18:19], v[14:15]
	v_xor_b32_e32 v19, 2, v20
	v_add_nc_u64_e32 v[10:11], v[12:13], v[4:5]
	v_cmp_gt_i32_e32 vcc_lo, 32, v1
	v_bitop3_b32 v12, v0, 63, v0 bitop3:0xc
	s_clause 0x2
	s_load_b64 s[12:13], s[0:1], 0x58
	s_load_b64 s[16:17], s[0:1], 0x48
	;; [unrolled: 1-line block ×3, first 2 shown]
	v_lshl_or_b32 v28, v4, 2, v27
	v_dual_add_nc_u32 v34, v26, v4 :: v_dual_cndmask_b32 v18, v20, v1, vcc_lo
	v_add_nc_u64_e32 v[0:1], v[16:17], v[4:5]
	v_xor_b32_e32 v16, 16, v20
	v_lshrrev_b64 v[12:13], v12, -1
	s_delay_alu instid0(VALU_DEP_4) | instskip(SKIP_1) | instid1(VALU_DEP_4)
	v_dual_lshlrev_b32 v13, 2, v18 :: v_dual_bitop2_b32 v17, 8, v20 bitop3:0x14
	v_xor_b32_e32 v18, 4, v20
	v_cmp_gt_i32_e32 vcc_lo, 32, v16
	s_wait_xcnt 0x0
	s_mov_b32 s1, 0
	v_dual_mov_b32 v35, 1 :: v_dual_cndmask_b32 v16, v20, v16
	v_cmp_gt_i32_e32 vcc_lo, 32, v17
	v_cndmask_b32_e32 v17, v20, v17, vcc_lo
	v_cmp_gt_i32_e32 vcc_lo, 32, v18
	v_xor_b32_e32 v21, 1, v20
	s_delay_alu instid0(VALU_DEP_3) | instskip(SKIP_4) | instid1(VALU_DEP_2)
	v_dual_lshlrev_b32 v29, 2, v16 :: v_dual_lshlrev_b32 v30, 2, v17
	v_cndmask_b32_e32 v18, v20, v18, vcc_lo
	v_cmp_gt_i32_e32 vcc_lo, 32, v19
	v_cndmask_b32_e32 v19, v20, v19, vcc_lo
	v_cmp_gt_i32_e32 vcc_lo, 32, v21
	v_dual_lshlrev_b32 v31, 2, v18 :: v_dual_lshlrev_b32 v32, 2, v19
	v_cndmask_b32_e32 v20, v20, v21, vcc_lo
	s_delay_alu instid0(VALU_DEP_1)
	v_lshlrev_b32_e32 v33, 2, v20
	s_branch .LBB5_11
.LBB5_10:                               ;   in Loop: Header=BB5_11 Depth=1
	s_wait_xcnt 0x0
	s_or_b32 exec_lo, exec_lo, s6
	ds_bpermute_b32 v14, v13, v16
	ds_bpermute_b32 v15, v13, v17
	s_bcnt1_i32_b32 s6, vcc_lo
	s_delay_alu instid0(SALU_CYCLE_1)
	v_add_nc_u64_e32 v[8:9], s[6:7], v[8:9]
	s_wait_dscnt 0x0
	v_min_i64 v[14:15], v[14:15], v[16:17]
	ds_bpermute_b32 v16, v29, v14
	ds_bpermute_b32 v17, v29, v15
	s_wait_dscnt 0x0
	v_min_i64 v[14:15], v[16:17], v[14:15]
	ds_bpermute_b32 v16, v30, v14
	ds_bpermute_b32 v17, v30, v15
	;; [unrolled: 4-line block ×5, first 2 shown]
	s_wait_dscnt 0x0
	v_min_i64 v[14:15], v[16:17], v[14:15]
	s_delay_alu instid0(VALU_DEP_1) | instskip(SKIP_1) | instid1(SALU_CYCLE_1)
	v_cmp_le_i64_e64 s0, s[10:11], v[14:15]
	s_or_b32 s1, s0, s1
	s_and_not1_b32 exec_lo, exec_lo, s1
	s_cbranch_execz .LBB5_33
.LBB5_11:                               ; =>This Loop Header: Depth=1
                                        ;     Child Loop BB5_14 Depth 2
                                        ;     Child Loop BB5_24 Depth 2
	v_mov_b64_e32 v[16:17], s[10:11]
	s_mov_b32 s6, exec_lo
	ds_store_b8 v34, v5
	ds_store_b32 v28, v5
	s_wait_dscnt 0x0
	v_cmpx_lt_i64_e64 v[10:11], v[2:3]
	s_cbranch_execz .LBB5_21
; %bb.12:                               ;   in Loop: Header=BB5_11 Depth=1
	v_mov_b64_e32 v[16:17], s[10:11]
	v_lshl_add_u64 v[18:19], v[10:11], 3, s[14:15]
	s_wait_kmcnt 0x0
	v_lshl_add_u64 v[20:21], v[10:11], 2, s[18:19]
	s_mov_b32 s22, 0
	s_branch .LBB5_14
.LBB5_13:                               ;   in Loop: Header=BB5_14 Depth=2
	s_or_b32 exec_lo, exec_lo, s23
	s_delay_alu instid0(SALU_CYCLE_1) | instskip(NEXT) | instid1(SALU_CYCLE_1)
	s_and_b32 s0, exec_lo, s0
	s_or_b32 s22, s0, s22
	s_delay_alu instid0(SALU_CYCLE_1)
	s_and_not1_b32 exec_lo, exec_lo, s22
	s_cbranch_execz .LBB5_20
.LBB5_14:                               ;   Parent Loop BB5_11 Depth=1
                                        ; =>  This Inner Loop Header: Depth=2
	global_load_b64 v[22:23], v[18:19], off
	s_wait_loadcnt 0x0
	v_sub_nc_u64_e64 v[24:25], v[22:23], s[2:3]
	s_delay_alu instid0(VALU_DEP_1) | instskip(NEXT) | instid1(VALU_DEP_1)
	v_sub_nc_u64_e32 v[22:23], v[24:25], v[14:15]
	v_cmp_lt_i64_e64 s0, 63, v[22:23]
	v_cmp_gt_i64_e32 vcc_lo, 64, v[22:23]
	s_wait_xcnt 0x0
	s_and_saveexec_b32 s23, s0
	s_delay_alu instid0(SALU_CYCLE_1)
	s_xor_b32 s0, exec_lo, s23
	s_cbranch_execnz .LBB5_17
; %bb.15:                               ;   in Loop: Header=BB5_14 Depth=2
	s_and_not1_saveexec_b32 s0, s0
	s_cbranch_execnz .LBB5_18
.LBB5_16:                               ;   in Loop: Header=BB5_14 Depth=2
	s_or_b32 exec_lo, exec_lo, s0
	s_mov_b32 s0, -1
	s_and_saveexec_b32 s23, vcc_lo
	s_cbranch_execz .LBB5_13
	s_branch .LBB5_19
.LBB5_17:                               ;   in Loop: Header=BB5_14 Depth=2
	v_min_i64 v[16:17], v[24:25], v[16:17]
                                        ; implicit-def: $vgpr22_vgpr23
	s_and_not1_saveexec_b32 s0, s0
	s_cbranch_execz .LBB5_16
.LBB5_18:                               ;   in Loop: Header=BB5_14 Depth=2
	global_load_b32 v4, v[20:21], off
	v_add_nc_u32_e32 v23, v26, v22
	v_lshl_add_u32 v22, v22, 2, v27
	s_wait_loadcnt 0x0
	v_mul_f32_e32 v4, s20, v4
	ds_store_b8 v23, v35
	ds_store_b32 v22, v4
	s_wait_xcnt 0x0
	s_or_b32 exec_lo, exec_lo, s0
	s_mov_b32 s0, -1
	s_and_saveexec_b32 s23, vcc_lo
	s_cbranch_execz .LBB5_13
.LBB5_19:                               ;   in Loop: Header=BB5_14 Depth=2
	v_add_nc_u64_e32 v[10:11], 64, v[10:11]
	v_add_nc_u64_e32 v[18:19], 0x200, v[18:19]
	;; [unrolled: 1-line block ×3, first 2 shown]
	s_delay_alu instid0(VALU_DEP_3)
	v_cmp_ge_i64_e32 vcc_lo, v[10:11], v[2:3]
	s_or_not1_b32 s0, vcc_lo, exec_lo
	s_branch .LBB5_13
.LBB5_20:                               ;   in Loop: Header=BB5_11 Depth=1
	s_or_b32 exec_lo, exec_lo, s22
.LBB5_21:                               ;   in Loop: Header=BB5_11 Depth=1
	s_delay_alu instid0(SALU_CYCLE_1) | instskip(NEXT) | instid1(SALU_CYCLE_1)
	s_or_b32 exec_lo, exec_lo, s6
	s_mov_b32 s6, exec_lo
	s_wait_dscnt 0x0
	v_cmpx_lt_i64_e64 v[0:1], v[6:7]
	s_cbranch_execz .LBB5_31
; %bb.22:                               ;   in Loop: Header=BB5_11 Depth=1
	s_wait_kmcnt 0x0
	v_lshl_add_u64 v[18:19], v[0:1], 3, s[8:9]
	v_lshl_add_u64 v[20:21], v[0:1], 2, s[16:17]
	s_mov_b32 s22, 0
	s_branch .LBB5_24
.LBB5_23:                               ;   in Loop: Header=BB5_24 Depth=2
	s_or_b32 exec_lo, exec_lo, s23
	s_delay_alu instid0(SALU_CYCLE_1) | instskip(NEXT) | instid1(SALU_CYCLE_1)
	s_and_b32 s0, exec_lo, s0
	s_or_b32 s22, s0, s22
	s_delay_alu instid0(SALU_CYCLE_1)
	s_and_not1_b32 exec_lo, exec_lo, s22
	s_cbranch_execz .LBB5_30
.LBB5_24:                               ;   Parent Loop BB5_11 Depth=1
                                        ; =>  This Inner Loop Header: Depth=2
	global_load_b64 v[22:23], v[18:19], off
	s_wait_loadcnt 0x0
	v_sub_nc_u64_e64 v[24:25], v[22:23], s[4:5]
	s_delay_alu instid0(VALU_DEP_1) | instskip(NEXT) | instid1(VALU_DEP_1)
	v_sub_nc_u64_e32 v[22:23], v[24:25], v[14:15]
	v_cmp_lt_i64_e64 s0, 63, v[22:23]
	v_cmp_gt_i64_e32 vcc_lo, 64, v[22:23]
	s_wait_xcnt 0x0
	s_and_saveexec_b32 s23, s0
	s_delay_alu instid0(SALU_CYCLE_1)
	s_xor_b32 s0, exec_lo, s23
	s_cbranch_execnz .LBB5_27
; %bb.25:                               ;   in Loop: Header=BB5_24 Depth=2
	s_and_not1_saveexec_b32 s0, s0
	s_cbranch_execnz .LBB5_28
.LBB5_26:                               ;   in Loop: Header=BB5_24 Depth=2
	s_or_b32 exec_lo, exec_lo, s0
	s_mov_b32 s0, -1
	s_and_saveexec_b32 s23, vcc_lo
	s_cbranch_execz .LBB5_23
	s_branch .LBB5_29
.LBB5_27:                               ;   in Loop: Header=BB5_24 Depth=2
	v_min_i64 v[16:17], v[24:25], v[16:17]
                                        ; implicit-def: $vgpr22_vgpr23
	s_and_not1_saveexec_b32 s0, s0
	s_cbranch_execz .LBB5_26
.LBB5_28:                               ;   in Loop: Header=BB5_24 Depth=2
	global_load_b32 v4, v[20:21], off
	v_lshl_add_u32 v23, v22, 2, v27
	ds_load_b32 v24, v23
	s_wait_loadcnt_dscnt 0x0
	v_dual_add_nc_u32 v22, v26, v22 :: v_dual_fmac_f32 v24, s21, v4
	ds_store_b8 v22, v35
	ds_store_b32 v23, v24
	s_wait_xcnt 0x0
	s_or_b32 exec_lo, exec_lo, s0
	s_mov_b32 s0, -1
	s_and_saveexec_b32 s23, vcc_lo
	s_cbranch_execz .LBB5_23
.LBB5_29:                               ;   in Loop: Header=BB5_24 Depth=2
	v_add_nc_u64_e32 v[0:1], 64, v[0:1]
	v_add_nc_u64_e32 v[18:19], 0x200, v[18:19]
	;; [unrolled: 1-line block ×3, first 2 shown]
	s_delay_alu instid0(VALU_DEP_3)
	v_cmp_ge_i64_e32 vcc_lo, v[0:1], v[6:7]
	s_or_not1_b32 s0, vcc_lo, exec_lo
	s_branch .LBB5_23
.LBB5_30:                               ;   in Loop: Header=BB5_11 Depth=1
	s_or_b32 exec_lo, exec_lo, s22
.LBB5_31:                               ;   in Loop: Header=BB5_11 Depth=1
	s_delay_alu instid0(SALU_CYCLE_1)
	s_or_b32 exec_lo, exec_lo, s6
	s_wait_dscnt 0x0
	ds_load_u8 v4, v34
	s_mov_b32 s6, exec_lo
	s_wait_dscnt 0x0
	v_and_b32_e32 v14, 1, v4
	v_cmp_ne_u16_e32 vcc_lo, 0, v4
	s_delay_alu instid0(VALU_DEP_2)
	v_cmpx_eq_u32_e32 1, v14
	s_cbranch_execz .LBB5_10
; %bb.32:                               ;   in Loop: Header=BB5_11 Depth=1
	v_and_b32_e32 v4, vcc_lo, v12
	ds_load_b32 v18, v28
	s_wait_kmcnt 0x0
	v_lshl_add_u64 v[14:15], v[8:9], 2, s[12:13]
	v_bcnt_u32_b32 v4, v4, 0
	s_delay_alu instid0(VALU_DEP_1) | instskip(NEXT) | instid1(VALU_DEP_1)
	v_lshlrev_b32_e32 v4, 2, v4
	v_add_nc_u64_e32 v[14:15], v[14:15], v[4:5]
	s_wait_dscnt 0x0
	global_store_b32 v[14:15], v18, off offset:-4
	s_branch .LBB5_10
.LBB5_33:
	s_endpgm
	.section	.rodata,"a",@progbits
	.p2align	6, 0x0
	.amdhsa_kernel _ZN9rocsparseL37csrgeam_fill_numeric_multipass_kernelILj256ELj64EllfEEvllNS_24const_host_device_scalarIT3_EEPKT1_PKT2_PKS2_S3_S6_S9_SB_S6_PS2_21rocsparse_index_base_SD_SD_bbb
		.amdhsa_group_segment_fixed_size 1280
		.amdhsa_private_segment_fixed_size 0
		.amdhsa_kernarg_size 112
		.amdhsa_user_sgpr_count 2
		.amdhsa_user_sgpr_dispatch_ptr 0
		.amdhsa_user_sgpr_queue_ptr 0
		.amdhsa_user_sgpr_kernarg_segment_ptr 1
		.amdhsa_user_sgpr_dispatch_id 0
		.amdhsa_user_sgpr_kernarg_preload_length 0
		.amdhsa_user_sgpr_kernarg_preload_offset 0
		.amdhsa_user_sgpr_private_segment_size 0
		.amdhsa_wavefront_size32 1
		.amdhsa_uses_dynamic_stack 0
		.amdhsa_enable_private_segment 0
		.amdhsa_system_sgpr_workgroup_id_x 1
		.amdhsa_system_sgpr_workgroup_id_y 0
		.amdhsa_system_sgpr_workgroup_id_z 0
		.amdhsa_system_sgpr_workgroup_info 0
		.amdhsa_system_vgpr_workitem_id 0
		.amdhsa_next_free_vgpr 36
		.amdhsa_next_free_sgpr 24
		.amdhsa_named_barrier_count 0
		.amdhsa_reserve_vcc 1
		.amdhsa_float_round_mode_32 0
		.amdhsa_float_round_mode_16_64 0
		.amdhsa_float_denorm_mode_32 3
		.amdhsa_float_denorm_mode_16_64 3
		.amdhsa_fp16_overflow 0
		.amdhsa_memory_ordered 1
		.amdhsa_forward_progress 1
		.amdhsa_inst_pref_size 14
		.amdhsa_round_robin_scheduling 0
		.amdhsa_exception_fp_ieee_invalid_op 0
		.amdhsa_exception_fp_denorm_src 0
		.amdhsa_exception_fp_ieee_div_zero 0
		.amdhsa_exception_fp_ieee_overflow 0
		.amdhsa_exception_fp_ieee_underflow 0
		.amdhsa_exception_fp_ieee_inexact 0
		.amdhsa_exception_int_div_zero 0
	.end_amdhsa_kernel
	.section	.text._ZN9rocsparseL37csrgeam_fill_numeric_multipass_kernelILj256ELj64EllfEEvllNS_24const_host_device_scalarIT3_EEPKT1_PKT2_PKS2_S3_S6_S9_SB_S6_PS2_21rocsparse_index_base_SD_SD_bbb,"axG",@progbits,_ZN9rocsparseL37csrgeam_fill_numeric_multipass_kernelILj256ELj64EllfEEvllNS_24const_host_device_scalarIT3_EEPKT1_PKT2_PKS2_S3_S6_S9_SB_S6_PS2_21rocsparse_index_base_SD_SD_bbb,comdat
.Lfunc_end5:
	.size	_ZN9rocsparseL37csrgeam_fill_numeric_multipass_kernelILj256ELj64EllfEEvllNS_24const_host_device_scalarIT3_EEPKT1_PKT2_PKS2_S3_S6_S9_SB_S6_PS2_21rocsparse_index_base_SD_SD_bbb, .Lfunc_end5-_ZN9rocsparseL37csrgeam_fill_numeric_multipass_kernelILj256ELj64EllfEEvllNS_24const_host_device_scalarIT3_EEPKT1_PKT2_PKS2_S3_S6_S9_SB_S6_PS2_21rocsparse_index_base_SD_SD_bbb
                                        ; -- End function
	.set _ZN9rocsparseL37csrgeam_fill_numeric_multipass_kernelILj256ELj64EllfEEvllNS_24const_host_device_scalarIT3_EEPKT1_PKT2_PKS2_S3_S6_S9_SB_S6_PS2_21rocsparse_index_base_SD_SD_bbb.num_vgpr, 36
	.set _ZN9rocsparseL37csrgeam_fill_numeric_multipass_kernelILj256ELj64EllfEEvllNS_24const_host_device_scalarIT3_EEPKT1_PKT2_PKS2_S3_S6_S9_SB_S6_PS2_21rocsparse_index_base_SD_SD_bbb.num_agpr, 0
	.set _ZN9rocsparseL37csrgeam_fill_numeric_multipass_kernelILj256ELj64EllfEEvllNS_24const_host_device_scalarIT3_EEPKT1_PKT2_PKS2_S3_S6_S9_SB_S6_PS2_21rocsparse_index_base_SD_SD_bbb.numbered_sgpr, 24
	.set _ZN9rocsparseL37csrgeam_fill_numeric_multipass_kernelILj256ELj64EllfEEvllNS_24const_host_device_scalarIT3_EEPKT1_PKT2_PKS2_S3_S6_S9_SB_S6_PS2_21rocsparse_index_base_SD_SD_bbb.num_named_barrier, 0
	.set _ZN9rocsparseL37csrgeam_fill_numeric_multipass_kernelILj256ELj64EllfEEvllNS_24const_host_device_scalarIT3_EEPKT1_PKT2_PKS2_S3_S6_S9_SB_S6_PS2_21rocsparse_index_base_SD_SD_bbb.private_seg_size, 0
	.set _ZN9rocsparseL37csrgeam_fill_numeric_multipass_kernelILj256ELj64EllfEEvllNS_24const_host_device_scalarIT3_EEPKT1_PKT2_PKS2_S3_S6_S9_SB_S6_PS2_21rocsparse_index_base_SD_SD_bbb.uses_vcc, 1
	.set _ZN9rocsparseL37csrgeam_fill_numeric_multipass_kernelILj256ELj64EllfEEvllNS_24const_host_device_scalarIT3_EEPKT1_PKT2_PKS2_S3_S6_S9_SB_S6_PS2_21rocsparse_index_base_SD_SD_bbb.uses_flat_scratch, 0
	.set _ZN9rocsparseL37csrgeam_fill_numeric_multipass_kernelILj256ELj64EllfEEvllNS_24const_host_device_scalarIT3_EEPKT1_PKT2_PKS2_S3_S6_S9_SB_S6_PS2_21rocsparse_index_base_SD_SD_bbb.has_dyn_sized_stack, 0
	.set _ZN9rocsparseL37csrgeam_fill_numeric_multipass_kernelILj256ELj64EllfEEvllNS_24const_host_device_scalarIT3_EEPKT1_PKT2_PKS2_S3_S6_S9_SB_S6_PS2_21rocsparse_index_base_SD_SD_bbb.has_recursion, 0
	.set _ZN9rocsparseL37csrgeam_fill_numeric_multipass_kernelILj256ELj64EllfEEvllNS_24const_host_device_scalarIT3_EEPKT1_PKT2_PKS2_S3_S6_S9_SB_S6_PS2_21rocsparse_index_base_SD_SD_bbb.has_indirect_call, 0
	.section	.AMDGPU.csdata,"",@progbits
; Kernel info:
; codeLenInByte = 1740
; TotalNumSgprs: 26
; NumVgprs: 36
; ScratchSize: 0
; MemoryBound: 0
; FloatMode: 240
; IeeeMode: 1
; LDSByteSize: 1280 bytes/workgroup (compile time only)
; SGPRBlocks: 0
; VGPRBlocks: 2
; NumSGPRsForWavesPerEU: 26
; NumVGPRsForWavesPerEU: 36
; NamedBarCnt: 0
; Occupancy: 16
; WaveLimiterHint : 1
; COMPUTE_PGM_RSRC2:SCRATCH_EN: 0
; COMPUTE_PGM_RSRC2:USER_SGPR: 2
; COMPUTE_PGM_RSRC2:TRAP_HANDLER: 0
; COMPUTE_PGM_RSRC2:TGID_X_EN: 1
; COMPUTE_PGM_RSRC2:TGID_Y_EN: 0
; COMPUTE_PGM_RSRC2:TGID_Z_EN: 0
; COMPUTE_PGM_RSRC2:TIDIG_COMP_CNT: 0
	.section	.text._ZN9rocsparseL37csrgeam_fill_numeric_multipass_kernelILj256ELj32EiidEEvllNS_24const_host_device_scalarIT3_EEPKT1_PKT2_PKS2_S3_S6_S9_SB_S6_PS2_21rocsparse_index_base_SD_SD_bbb,"axG",@progbits,_ZN9rocsparseL37csrgeam_fill_numeric_multipass_kernelILj256ELj32EiidEEvllNS_24const_host_device_scalarIT3_EEPKT1_PKT2_PKS2_S3_S6_S9_SB_S6_PS2_21rocsparse_index_base_SD_SD_bbb,comdat
	.globl	_ZN9rocsparseL37csrgeam_fill_numeric_multipass_kernelILj256ELj32EiidEEvllNS_24const_host_device_scalarIT3_EEPKT1_PKT2_PKS2_S3_S6_S9_SB_S6_PS2_21rocsparse_index_base_SD_SD_bbb ; -- Begin function _ZN9rocsparseL37csrgeam_fill_numeric_multipass_kernelILj256ELj32EiidEEvllNS_24const_host_device_scalarIT3_EEPKT1_PKT2_PKS2_S3_S6_S9_SB_S6_PS2_21rocsparse_index_base_SD_SD_bbb
	.p2align	8
	.type	_ZN9rocsparseL37csrgeam_fill_numeric_multipass_kernelILj256ELj32EiidEEvllNS_24const_host_device_scalarIT3_EEPKT1_PKT2_PKS2_S3_S6_S9_SB_S6_PS2_21rocsparse_index_base_SD_SD_bbb,@function
_ZN9rocsparseL37csrgeam_fill_numeric_multipass_kernelILj256ELj32EiidEEvllNS_24const_host_device_scalarIT3_EEPKT1_PKT2_PKS2_S3_S6_S9_SB_S6_PS2_21rocsparse_index_base_SD_SD_bbb: ; @_ZN9rocsparseL37csrgeam_fill_numeric_multipass_kernelILj256ELj32EiidEEvllNS_24const_host_device_scalarIT3_EEPKT1_PKT2_PKS2_S3_S6_S9_SB_S6_PS2_21rocsparse_index_base_SD_SD_bbb
; %bb.0:
	s_clause 0x4
	s_load_b128 s[4:7], s[0:1], 0x60
	s_load_b32 s14, s[0:1], 0x6c
	s_load_b64 s[12:13], s[0:1], 0x10
	s_load_b64 s[2:3], s[0:1], 0x30
	s_load_b128 s[8:11], s[0:1], 0x0
	s_wait_kmcnt 0x0
	s_bitcmp1_b32 s7, 0
	s_cselect_b32 s15, -1, 0
	s_bitcmp1_b32 s14, 16
	s_cselect_b32 s7, -1, 0
	s_xor_b32 s16, s15, -1
	s_delay_alu instid0(SALU_CYCLE_1)
	s_or_b32 s18, s7, s16
	s_and_b32 s15, s15, exec_lo
	s_cselect_b32 s17, s13, 0
	s_cselect_b32 s16, s12, 0
	s_and_b32 vcc_lo, exec_lo, s18
	v_mov_b64_e32 v[2:3], s[16:17]
	s_cbranch_vccnz .LBB6_2
; %bb.1:
	v_mov_b32_e32 v1, 0
	flat_load_b64 v[2:3], v1, s[12:13]
.LBB6_2:
	s_bitcmp1_b32 s14, 8
	s_wait_xcnt 0x0
	s_cselect_b32 s12, -1, 0
	s_delay_alu instid0(SALU_CYCLE_1) | instskip(NEXT) | instid1(SALU_CYCLE_1)
	s_xor_b32 s13, s12, -1
	s_or_b32 s7, s7, s13
	s_and_b32 s12, s12, exec_lo
	s_cselect_b32 s13, s3, 0
	s_cselect_b32 s12, s2, 0
	s_and_b32 vcc_lo, exec_lo, s7
	v_mov_b64_e32 v[4:5], s[12:13]
	s_cbranch_vccnz .LBB6_4
; %bb.3:
	v_mov_b32_e32 v1, 0
	flat_load_b64 v[4:5], v1, s[2:3]
.LBB6_4:
	s_wait_xcnt 0x0
	s_bfe_u32 s2, ttmp6, 0x4000c
	s_and_b32 s3, ttmp6, 15
	s_add_co_i32 s2, s2, 1
	s_getreg_b32 s7, hwreg(HW_REG_IB_STS2, 6, 4)
	s_mul_i32 s2, ttmp9, s2
	v_dual_lshrrev_b32 v1, 5, v0 :: v_dual_mov_b32 v11, 0
	s_add_co_i32 s3, s3, s2
	s_cmp_eq_u32 s7, 0
	s_cselect_b32 s2, ttmp9, s3
	s_delay_alu instid0(SALU_CYCLE_1) | instskip(NEXT) | instid1(SALU_CYCLE_1)
	s_lshl_b32 s2, s2, 3
	v_and_or_b32 v10, 0x7fffff8, s2, v1
	s_mov_b32 s2, exec_lo
	s_delay_alu instid0(VALU_DEP_1)
	v_cmpx_gt_i64_e64 s[8:9], v[10:11]
	s_cbranch_execz .LBB6_35
; %bb.5:
	s_clause 0x2
	s_load_b128 s[12:15], s[0:1], 0x18
	s_load_b64 s[2:3], s[0:1], 0x38
	s_load_b64 s[8:9], s[0:1], 0x50
	v_lshlrev_b32_e32 v11, 2, v10
	s_wait_kmcnt 0x0
	s_clause 0x1
	global_load_b64 v[8:9], v11, s[12:13]
	global_load_b64 v[6:7], v11, s[2:3]
	global_load_b32 v1, v10, s[8:9] scale_offset
	s_wait_xcnt 0x1
	s_mov_b32 s2, exec_lo
	s_wait_loadcnt 0x2
	s_wait_xcnt 0x0
	v_cmpx_ge_i32_e64 v8, v9
	s_xor_b32 s2, exec_lo, s2
	s_delay_alu instid0(SALU_CYCLE_1)
	s_or_saveexec_b32 s2, s2
	v_subrev_nc_u32_e32 v8, s4, v8
	v_mov_b32_e32 v10, s10
	s_xor_b32 exec_lo, exec_lo, s2
	s_cbranch_execz .LBB6_7
; %bb.6:
	global_load_b32 v10, v8, s[14:15] scale_offset
	s_wait_loadcnt 0x0
	v_subrev_nc_u32_e32 v10, s4, v10
.LBB6_7:
	s_or_b32 exec_lo, exec_lo, s2
	s_load_b64 s[2:3], s[0:1], 0x40
	v_mov_b32_e32 v12, s10
	s_mov_b32 s7, exec_lo
	s_wait_loadcnt 0x1
	v_cmpx_ge_i32_e64 v6, v7
	s_xor_b32 s7, exec_lo, s7
; %bb.8:
	v_mov_b32_e32 v12, s10
; %bb.9:
	s_or_saveexec_b32 s7, s7
	s_load_b64 s[8:9], s[0:1], 0x58
	v_subrev_nc_u32_e32 v6, s5, v6
	s_delay_alu instid0(VALU_DEP_2)
	v_mov_b32_e32 v11, v12
	s_xor_b32 exec_lo, exec_lo, s7
	s_cbranch_execz .LBB6_11
; %bb.10:
	s_wait_kmcnt 0x0
	global_load_b32 v11, v6, s[2:3] scale_offset
	s_wait_loadcnt 0x0
	v_subrev_nc_u32_e32 v11, s5, v11
.LBB6_11:
	s_or_b32 exec_lo, exec_lo, s7
	v_and_b32_e32 v15, 0xe0, v0
	v_subrev_nc_u32_e32 v13, s4, v9
	v_subrev_nc_u32_e32 v16, s5, v7
	v_mbcnt_lo_u32_b32 v9, -1, 0
	s_wait_loadcnt 0x0
	v_subrev_nc_u32_e32 v17, s6, v1
	v_or_b32_e32 v14, 0x800, v15
	v_dual_lshlrev_b32 v15, 3, v15 :: v_dual_bitop2_b32 v7, 31, v0 bitop3:0x40
	v_min_i32_e32 v10, v11, v10
	v_bitop3_b32 v1, v0, 31, v0 bitop3:0xc
	v_xor_b32_e32 v20, 2, v9
	s_delay_alu instid0(VALU_DEP_4) | instskip(SKIP_1) | instid1(VALU_DEP_4)
	v_dual_add_nc_u32 v0, v8, v7 :: v_dual_bitop2_b32 v11, 4, v9 bitop3:0x14
	v_dual_add_nc_u32 v6, v6, v7 :: v_dual_bitop2_b32 v8, 16, v9 bitop3:0x14
	v_lshrrev_b32_e64 v19, v1, -1
	s_clause 0x1
	s_load_b64 s[12:13], s[0:1], 0x48
	s_load_b64 s[16:17], s[0:1], 0x28
	v_lshl_or_b32 v18, v7, 3, v15
	v_cmp_gt_i32_e32 vcc_lo, 32, v8
	v_dual_mov_b32 v27, 1 :: v_dual_bitop2_b32 v1, 8, v9 bitop3:0x14
	s_wait_xcnt 0x0
	s_mov_b32 s1, 0
	v_dual_cndmask_b32 v8, v9, v8 :: v_dual_add_nc_u32 v25, v14, v7
	s_delay_alu instid0(VALU_DEP_2) | instskip(SKIP_4) | instid1(VALU_DEP_2)
	v_cmp_gt_i32_e32 vcc_lo, 32, v1
	v_dual_mov_b32 v26, 0 :: v_dual_cndmask_b32 v1, v9, v1
	v_cmp_gt_i32_e32 vcc_lo, 32, v11
	v_dual_cndmask_b32 v11, v9, v11, vcc_lo :: v_dual_bitop2_b32 v21, 1, v9 bitop3:0x14
	v_cmp_gt_i32_e32 vcc_lo, 32, v20
	v_dual_cndmask_b32 v23, v9, v20 :: v_dual_lshlrev_b32 v22, 2, v11
	s_delay_alu instid0(VALU_DEP_3) | instskip(NEXT) | instid1(VALU_DEP_2)
	v_cmp_gt_i32_e32 vcc_lo, 32, v21
	v_dual_lshlrev_b32 v20, 2, v8 :: v_dual_lshlrev_b32 v23, 2, v23
	v_cndmask_b32_e32 v9, v9, v21, vcc_lo
	v_lshlrev_b32_e32 v21, 2, v1
	s_delay_alu instid0(VALU_DEP_2)
	v_lshlrev_b32_e32 v24, 2, v9
	v_mov_b64_e32 v[8:9], 0
	s_branch .LBB6_13
.LBB6_12:                               ;   in Loop: Header=BB6_13 Depth=1
	s_wait_xcnt 0x0
	s_or_b32 exec_lo, exec_lo, s6
	ds_bpermute_b32 v1, v20, v11
	s_bcnt1_i32_b32 s6, vcc_lo
	s_wait_dscnt 0x0
	v_dual_add_nc_u32 v17, s6, v17 :: v_dual_min_i32 v1, v1, v11
	ds_bpermute_b32 v7, v21, v1
	s_wait_dscnt 0x0
	v_min_i32_e32 v1, v7, v1
	ds_bpermute_b32 v7, v22, v1
	s_wait_dscnt 0x0
	v_min_i32_e32 v1, v7, v1
	;; [unrolled: 3-line block ×4, first 2 shown]
	s_delay_alu instid0(VALU_DEP_1) | instskip(NEXT) | instid1(VALU_DEP_1)
	v_ashrrev_i32_e32 v11, 31, v10
	v_cmp_le_i64_e64 s0, s[10:11], v[10:11]
	s_or_b32 s1, s0, s1
	s_delay_alu instid0(SALU_CYCLE_1)
	s_and_not1_b32 exec_lo, exec_lo, s1
	s_cbranch_execz .LBB6_35
.LBB6_13:                               ; =>This Loop Header: Depth=1
                                        ;     Child Loop BB6_16 Depth 2
                                        ;     Child Loop BB6_26 Depth 2
	v_mov_b32_e32 v11, v12
	s_mov_b32 s6, exec_lo
	ds_store_b8 v25, v26
	ds_store_b64 v18, v[8:9]
	s_wait_dscnt 0x0
	v_cmpx_lt_i32_e64 v0, v13
	s_cbranch_execz .LBB6_23
; %bb.14:                               ;   in Loop: Header=BB6_13 Depth=1
	v_mov_b32_e32 v11, v12
	s_mov_b32 s7, 0
	s_branch .LBB6_16
.LBB6_15:                               ;   in Loop: Header=BB6_16 Depth=2
	s_or_b32 exec_lo, exec_lo, s18
	s_delay_alu instid0(SALU_CYCLE_1) | instskip(NEXT) | instid1(SALU_CYCLE_1)
	s_and_b32 s0, exec_lo, s0
	s_or_b32 s7, s0, s7
	s_delay_alu instid0(SALU_CYCLE_1)
	s_and_not1_b32 exec_lo, exec_lo, s7
	s_cbranch_execz .LBB6_22
.LBB6_16:                               ;   Parent Loop BB6_13 Depth=1
                                        ; =>  This Inner Loop Header: Depth=2
	global_load_b32 v1, v0, s[14:15] scale_offset
	s_wait_loadcnt 0x0
	v_subrev_nc_u32_e32 v1, s4, v1
	s_delay_alu instid0(VALU_DEP_1) | instskip(NEXT) | instid1(VALU_DEP_1)
	v_sub_nc_u32_e32 v7, v1, v10
	v_cmp_lt_u32_e64 s0, 31, v7
	v_cmp_gt_u32_e32 vcc_lo, 32, v7
	s_wait_xcnt 0x0
	s_and_saveexec_b32 s18, s0
	s_delay_alu instid0(SALU_CYCLE_1)
	s_xor_b32 s0, exec_lo, s18
	s_cbranch_execnz .LBB6_19
; %bb.17:                               ;   in Loop: Header=BB6_16 Depth=2
	s_and_not1_saveexec_b32 s0, s0
	s_cbranch_execnz .LBB6_20
.LBB6_18:                               ;   in Loop: Header=BB6_16 Depth=2
	s_or_b32 exec_lo, exec_lo, s0
	s_mov_b32 s0, -1
	s_and_saveexec_b32 s18, vcc_lo
	s_cbranch_execz .LBB6_15
	s_branch .LBB6_21
.LBB6_19:                               ;   in Loop: Header=BB6_16 Depth=2
	v_min_i32_e32 v11, v1, v11
                                        ; implicit-def: $vgpr7
	s_and_not1_saveexec_b32 s0, s0
	s_cbranch_execz .LBB6_18
.LBB6_20:                               ;   in Loop: Header=BB6_16 Depth=2
	v_ashrrev_i32_e32 v1, 31, v0
	s_wait_kmcnt 0x0
	s_delay_alu instid0(VALU_DEP_1)
	v_lshl_add_u64 v[28:29], v[0:1], 3, s[16:17]
	v_add_nc_u32_e32 v1, v14, v7
	v_lshl_add_u32 v7, v7, 3, v15
	global_load_b64 v[28:29], v[28:29], off
	s_wait_loadcnt 0x0
	s_wait_xcnt 0x0
	v_mul_f64_e32 v[28:29], v[2:3], v[28:29]
	ds_store_b8 v1, v27
	ds_store_b64 v7, v[28:29]
	s_or_b32 exec_lo, exec_lo, s0
	s_mov_b32 s0, -1
	s_and_saveexec_b32 s18, vcc_lo
	s_cbranch_execz .LBB6_15
.LBB6_21:                               ;   in Loop: Header=BB6_16 Depth=2
	v_add_nc_u32_e32 v0, 32, v0
	s_delay_alu instid0(VALU_DEP_1)
	v_cmp_ge_i32_e32 vcc_lo, v0, v13
	s_or_not1_b32 s0, vcc_lo, exec_lo
	s_branch .LBB6_15
.LBB6_22:                               ;   in Loop: Header=BB6_13 Depth=1
	s_or_b32 exec_lo, exec_lo, s7
.LBB6_23:                               ;   in Loop: Header=BB6_13 Depth=1
	s_delay_alu instid0(SALU_CYCLE_1) | instskip(NEXT) | instid1(SALU_CYCLE_1)
	s_or_b32 exec_lo, exec_lo, s6
	s_mov_b32 s6, exec_lo
	s_wait_dscnt 0x0
	v_cmpx_lt_i32_e64 v6, v16
	s_cbranch_execz .LBB6_33
; %bb.24:                               ;   in Loop: Header=BB6_13 Depth=1
	s_mov_b32 s7, 0
	s_branch .LBB6_26
.LBB6_25:                               ;   in Loop: Header=BB6_26 Depth=2
	s_or_b32 exec_lo, exec_lo, s18
	s_delay_alu instid0(SALU_CYCLE_1) | instskip(NEXT) | instid1(SALU_CYCLE_1)
	s_and_b32 s0, exec_lo, s0
	s_or_b32 s7, s0, s7
	s_delay_alu instid0(SALU_CYCLE_1)
	s_and_not1_b32 exec_lo, exec_lo, s7
	s_cbranch_execz .LBB6_32
.LBB6_26:                               ;   Parent Loop BB6_13 Depth=1
                                        ; =>  This Inner Loop Header: Depth=2
	s_wait_kmcnt 0x0
	global_load_b32 v1, v6, s[2:3] scale_offset
	s_wait_loadcnt 0x0
	v_subrev_nc_u32_e32 v7, s5, v1
	s_delay_alu instid0(VALU_DEP_1) | instskip(NEXT) | instid1(VALU_DEP_1)
	v_sub_nc_u32_e32 v1, v7, v10
	v_cmp_lt_u32_e64 s0, 31, v1
	v_cmp_gt_u32_e32 vcc_lo, 32, v1
	s_wait_xcnt 0x0
	s_and_saveexec_b32 s18, s0
	s_delay_alu instid0(SALU_CYCLE_1)
	s_xor_b32 s0, exec_lo, s18
	s_cbranch_execnz .LBB6_29
; %bb.27:                               ;   in Loop: Header=BB6_26 Depth=2
	s_and_not1_saveexec_b32 s0, s0
	s_cbranch_execnz .LBB6_30
.LBB6_28:                               ;   in Loop: Header=BB6_26 Depth=2
	s_or_b32 exec_lo, exec_lo, s0
	s_mov_b32 s0, -1
	s_and_saveexec_b32 s18, vcc_lo
	s_cbranch_execz .LBB6_25
	s_branch .LBB6_31
.LBB6_29:                               ;   in Loop: Header=BB6_26 Depth=2
	v_min_i32_e32 v11, v7, v11
                                        ; implicit-def: $vgpr1
	s_and_not1_saveexec_b32 s0, s0
	s_cbranch_execz .LBB6_28
.LBB6_30:                               ;   in Loop: Header=BB6_26 Depth=2
	v_ashrrev_i32_e32 v7, 31, v6
	s_delay_alu instid0(VALU_DEP_1)
	v_lshl_add_u64 v[28:29], v[6:7], 3, s[12:13]
	v_lshl_add_u32 v7, v1, 3, v15
	v_add_nc_u32_e32 v1, v14, v1
	global_load_b64 v[28:29], v[28:29], off
	ds_load_b64 v[30:31], v7
	s_wait_loadcnt_dscnt 0x0
	v_fmac_f64_e32 v[30:31], v[4:5], v[28:29]
	ds_store_b8 v1, v27
	ds_store_b64 v7, v[30:31]
	s_wait_xcnt 0x0
	s_or_b32 exec_lo, exec_lo, s0
	s_mov_b32 s0, -1
	s_and_saveexec_b32 s18, vcc_lo
	s_cbranch_execz .LBB6_25
.LBB6_31:                               ;   in Loop: Header=BB6_26 Depth=2
	v_add_nc_u32_e32 v6, 32, v6
	s_delay_alu instid0(VALU_DEP_1)
	v_cmp_ge_i32_e32 vcc_lo, v6, v16
	s_or_not1_b32 s0, vcc_lo, exec_lo
	s_branch .LBB6_25
.LBB6_32:                               ;   in Loop: Header=BB6_13 Depth=1
	s_or_b32 exec_lo, exec_lo, s7
.LBB6_33:                               ;   in Loop: Header=BB6_13 Depth=1
	s_delay_alu instid0(SALU_CYCLE_1)
	s_or_b32 exec_lo, exec_lo, s6
	s_wait_dscnt 0x0
	ds_load_u8 v1, v25
	s_mov_b32 s6, exec_lo
	s_wait_dscnt 0x0
	v_and_b32_e32 v7, 1, v1
	v_cmp_ne_u16_e32 vcc_lo, 0, v1
	s_delay_alu instid0(VALU_DEP_2)
	v_cmpx_eq_u32_e32 1, v7
	s_cbranch_execz .LBB6_12
; %bb.34:                               ;   in Loop: Header=BB6_13 Depth=1
	ds_load_b64 v[28:29], v18
	v_and_b32_e32 v1, vcc_lo, v19
	s_delay_alu instid0(VALU_DEP_1) | instskip(NEXT) | instid1(VALU_DEP_1)
	v_bcnt_u32_b32 v1, v1, 0
	v_add3_u32 v1, v17, v1, -1
	s_wait_dscnt 0x0
	s_wait_kmcnt 0x0
	global_store_b64 v1, v[28:29], s[8:9] scale_offset
	s_branch .LBB6_12
.LBB6_35:
	s_endpgm
	.section	.rodata,"a",@progbits
	.p2align	6, 0x0
	.amdhsa_kernel _ZN9rocsparseL37csrgeam_fill_numeric_multipass_kernelILj256ELj32EiidEEvllNS_24const_host_device_scalarIT3_EEPKT1_PKT2_PKS2_S3_S6_S9_SB_S6_PS2_21rocsparse_index_base_SD_SD_bbb
		.amdhsa_group_segment_fixed_size 2304
		.amdhsa_private_segment_fixed_size 0
		.amdhsa_kernarg_size 112
		.amdhsa_user_sgpr_count 2
		.amdhsa_user_sgpr_dispatch_ptr 0
		.amdhsa_user_sgpr_queue_ptr 0
		.amdhsa_user_sgpr_kernarg_segment_ptr 1
		.amdhsa_user_sgpr_dispatch_id 0
		.amdhsa_user_sgpr_kernarg_preload_length 0
		.amdhsa_user_sgpr_kernarg_preload_offset 0
		.amdhsa_user_sgpr_private_segment_size 0
		.amdhsa_wavefront_size32 1
		.amdhsa_uses_dynamic_stack 0
		.amdhsa_enable_private_segment 0
		.amdhsa_system_sgpr_workgroup_id_x 1
		.amdhsa_system_sgpr_workgroup_id_y 0
		.amdhsa_system_sgpr_workgroup_id_z 0
		.amdhsa_system_sgpr_workgroup_info 0
		.amdhsa_system_vgpr_workitem_id 0
		.amdhsa_next_free_vgpr 32
		.amdhsa_next_free_sgpr 19
		.amdhsa_named_barrier_count 0
		.amdhsa_reserve_vcc 1
		.amdhsa_float_round_mode_32 0
		.amdhsa_float_round_mode_16_64 0
		.amdhsa_float_denorm_mode_32 3
		.amdhsa_float_denorm_mode_16_64 3
		.amdhsa_fp16_overflow 0
		.amdhsa_memory_ordered 1
		.amdhsa_forward_progress 1
		.amdhsa_inst_pref_size 13
		.amdhsa_round_robin_scheduling 0
		.amdhsa_exception_fp_ieee_invalid_op 0
		.amdhsa_exception_fp_denorm_src 0
		.amdhsa_exception_fp_ieee_div_zero 0
		.amdhsa_exception_fp_ieee_overflow 0
		.amdhsa_exception_fp_ieee_underflow 0
		.amdhsa_exception_fp_ieee_inexact 0
		.amdhsa_exception_int_div_zero 0
	.end_amdhsa_kernel
	.section	.text._ZN9rocsparseL37csrgeam_fill_numeric_multipass_kernelILj256ELj32EiidEEvllNS_24const_host_device_scalarIT3_EEPKT1_PKT2_PKS2_S3_S6_S9_SB_S6_PS2_21rocsparse_index_base_SD_SD_bbb,"axG",@progbits,_ZN9rocsparseL37csrgeam_fill_numeric_multipass_kernelILj256ELj32EiidEEvllNS_24const_host_device_scalarIT3_EEPKT1_PKT2_PKS2_S3_S6_S9_SB_S6_PS2_21rocsparse_index_base_SD_SD_bbb,comdat
.Lfunc_end6:
	.size	_ZN9rocsparseL37csrgeam_fill_numeric_multipass_kernelILj256ELj32EiidEEvllNS_24const_host_device_scalarIT3_EEPKT1_PKT2_PKS2_S3_S6_S9_SB_S6_PS2_21rocsparse_index_base_SD_SD_bbb, .Lfunc_end6-_ZN9rocsparseL37csrgeam_fill_numeric_multipass_kernelILj256ELj32EiidEEvllNS_24const_host_device_scalarIT3_EEPKT1_PKT2_PKS2_S3_S6_S9_SB_S6_PS2_21rocsparse_index_base_SD_SD_bbb
                                        ; -- End function
	.set _ZN9rocsparseL37csrgeam_fill_numeric_multipass_kernelILj256ELj32EiidEEvllNS_24const_host_device_scalarIT3_EEPKT1_PKT2_PKS2_S3_S6_S9_SB_S6_PS2_21rocsparse_index_base_SD_SD_bbb.num_vgpr, 32
	.set _ZN9rocsparseL37csrgeam_fill_numeric_multipass_kernelILj256ELj32EiidEEvllNS_24const_host_device_scalarIT3_EEPKT1_PKT2_PKS2_S3_S6_S9_SB_S6_PS2_21rocsparse_index_base_SD_SD_bbb.num_agpr, 0
	.set _ZN9rocsparseL37csrgeam_fill_numeric_multipass_kernelILj256ELj32EiidEEvllNS_24const_host_device_scalarIT3_EEPKT1_PKT2_PKS2_S3_S6_S9_SB_S6_PS2_21rocsparse_index_base_SD_SD_bbb.numbered_sgpr, 19
	.set _ZN9rocsparseL37csrgeam_fill_numeric_multipass_kernelILj256ELj32EiidEEvllNS_24const_host_device_scalarIT3_EEPKT1_PKT2_PKS2_S3_S6_S9_SB_S6_PS2_21rocsparse_index_base_SD_SD_bbb.num_named_barrier, 0
	.set _ZN9rocsparseL37csrgeam_fill_numeric_multipass_kernelILj256ELj32EiidEEvllNS_24const_host_device_scalarIT3_EEPKT1_PKT2_PKS2_S3_S6_S9_SB_S6_PS2_21rocsparse_index_base_SD_SD_bbb.private_seg_size, 0
	.set _ZN9rocsparseL37csrgeam_fill_numeric_multipass_kernelILj256ELj32EiidEEvllNS_24const_host_device_scalarIT3_EEPKT1_PKT2_PKS2_S3_S6_S9_SB_S6_PS2_21rocsparse_index_base_SD_SD_bbb.uses_vcc, 1
	.set _ZN9rocsparseL37csrgeam_fill_numeric_multipass_kernelILj256ELj32EiidEEvllNS_24const_host_device_scalarIT3_EEPKT1_PKT2_PKS2_S3_S6_S9_SB_S6_PS2_21rocsparse_index_base_SD_SD_bbb.uses_flat_scratch, 0
	.set _ZN9rocsparseL37csrgeam_fill_numeric_multipass_kernelILj256ELj32EiidEEvllNS_24const_host_device_scalarIT3_EEPKT1_PKT2_PKS2_S3_S6_S9_SB_S6_PS2_21rocsparse_index_base_SD_SD_bbb.has_dyn_sized_stack, 0
	.set _ZN9rocsparseL37csrgeam_fill_numeric_multipass_kernelILj256ELj32EiidEEvllNS_24const_host_device_scalarIT3_EEPKT1_PKT2_PKS2_S3_S6_S9_SB_S6_PS2_21rocsparse_index_base_SD_SD_bbb.has_recursion, 0
	.set _ZN9rocsparseL37csrgeam_fill_numeric_multipass_kernelILj256ELj32EiidEEvllNS_24const_host_device_scalarIT3_EEPKT1_PKT2_PKS2_S3_S6_S9_SB_S6_PS2_21rocsparse_index_base_SD_SD_bbb.has_indirect_call, 0
	.section	.AMDGPU.csdata,"",@progbits
; Kernel info:
; codeLenInByte = 1588
; TotalNumSgprs: 21
; NumVgprs: 32
; ScratchSize: 0
; MemoryBound: 0
; FloatMode: 240
; IeeeMode: 1
; LDSByteSize: 2304 bytes/workgroup (compile time only)
; SGPRBlocks: 0
; VGPRBlocks: 1
; NumSGPRsForWavesPerEU: 21
; NumVGPRsForWavesPerEU: 32
; NamedBarCnt: 0
; Occupancy: 16
; WaveLimiterHint : 1
; COMPUTE_PGM_RSRC2:SCRATCH_EN: 0
; COMPUTE_PGM_RSRC2:USER_SGPR: 2
; COMPUTE_PGM_RSRC2:TRAP_HANDLER: 0
; COMPUTE_PGM_RSRC2:TGID_X_EN: 1
; COMPUTE_PGM_RSRC2:TGID_Y_EN: 0
; COMPUTE_PGM_RSRC2:TGID_Z_EN: 0
; COMPUTE_PGM_RSRC2:TIDIG_COMP_CNT: 0
	.section	.text._ZN9rocsparseL37csrgeam_fill_numeric_multipass_kernelILj256ELj64EiidEEvllNS_24const_host_device_scalarIT3_EEPKT1_PKT2_PKS2_S3_S6_S9_SB_S6_PS2_21rocsparse_index_base_SD_SD_bbb,"axG",@progbits,_ZN9rocsparseL37csrgeam_fill_numeric_multipass_kernelILj256ELj64EiidEEvllNS_24const_host_device_scalarIT3_EEPKT1_PKT2_PKS2_S3_S6_S9_SB_S6_PS2_21rocsparse_index_base_SD_SD_bbb,comdat
	.globl	_ZN9rocsparseL37csrgeam_fill_numeric_multipass_kernelILj256ELj64EiidEEvllNS_24const_host_device_scalarIT3_EEPKT1_PKT2_PKS2_S3_S6_S9_SB_S6_PS2_21rocsparse_index_base_SD_SD_bbb ; -- Begin function _ZN9rocsparseL37csrgeam_fill_numeric_multipass_kernelILj256ELj64EiidEEvllNS_24const_host_device_scalarIT3_EEPKT1_PKT2_PKS2_S3_S6_S9_SB_S6_PS2_21rocsparse_index_base_SD_SD_bbb
	.p2align	8
	.type	_ZN9rocsparseL37csrgeam_fill_numeric_multipass_kernelILj256ELj64EiidEEvllNS_24const_host_device_scalarIT3_EEPKT1_PKT2_PKS2_S3_S6_S9_SB_S6_PS2_21rocsparse_index_base_SD_SD_bbb,@function
_ZN9rocsparseL37csrgeam_fill_numeric_multipass_kernelILj256ELj64EiidEEvllNS_24const_host_device_scalarIT3_EEPKT1_PKT2_PKS2_S3_S6_S9_SB_S6_PS2_21rocsparse_index_base_SD_SD_bbb: ; @_ZN9rocsparseL37csrgeam_fill_numeric_multipass_kernelILj256ELj64EiidEEvllNS_24const_host_device_scalarIT3_EEPKT1_PKT2_PKS2_S3_S6_S9_SB_S6_PS2_21rocsparse_index_base_SD_SD_bbb
; %bb.0:
	s_clause 0x4
	s_load_b128 s[4:7], s[0:1], 0x60
	s_load_b32 s14, s[0:1], 0x6c
	s_load_b64 s[12:13], s[0:1], 0x10
	s_load_b64 s[2:3], s[0:1], 0x30
	s_load_b128 s[8:11], s[0:1], 0x0
	s_wait_kmcnt 0x0
	s_bitcmp1_b32 s7, 0
	s_cselect_b32 s15, -1, 0
	s_bitcmp1_b32 s14, 16
	s_cselect_b32 s7, -1, 0
	s_xor_b32 s16, s15, -1
	s_delay_alu instid0(SALU_CYCLE_1)
	s_or_b32 s18, s7, s16
	s_and_b32 s15, s15, exec_lo
	s_cselect_b32 s17, s13, 0
	s_cselect_b32 s16, s12, 0
	s_and_b32 vcc_lo, exec_lo, s18
	v_mov_b64_e32 v[2:3], s[16:17]
	s_cbranch_vccnz .LBB7_2
; %bb.1:
	v_mov_b32_e32 v1, 0
	flat_load_b64 v[2:3], v1, s[12:13]
.LBB7_2:
	s_bitcmp1_b32 s14, 8
	s_wait_xcnt 0x0
	s_cselect_b32 s12, -1, 0
	s_delay_alu instid0(SALU_CYCLE_1) | instskip(NEXT) | instid1(SALU_CYCLE_1)
	s_xor_b32 s13, s12, -1
	s_or_b32 s7, s7, s13
	s_and_b32 s12, s12, exec_lo
	s_cselect_b32 s13, s3, 0
	s_cselect_b32 s12, s2, 0
	s_and_b32 vcc_lo, exec_lo, s7
	v_mov_b64_e32 v[4:5], s[12:13]
	s_cbranch_vccnz .LBB7_4
; %bb.3:
	v_mov_b32_e32 v1, 0
	flat_load_b64 v[4:5], v1, s[2:3]
.LBB7_4:
	s_wait_xcnt 0x0
	s_bfe_u32 s2, ttmp6, 0x4000c
	s_and_b32 s3, ttmp6, 15
	s_add_co_i32 s2, s2, 1
	s_getreg_b32 s7, hwreg(HW_REG_IB_STS2, 6, 4)
	s_mul_i32 s2, ttmp9, s2
	v_dual_lshrrev_b32 v1, 6, v0 :: v_dual_mov_b32 v11, 0
	s_add_co_i32 s3, s3, s2
	s_cmp_eq_u32 s7, 0
	s_cselect_b32 s2, ttmp9, s3
	s_delay_alu instid0(SALU_CYCLE_1) | instskip(NEXT) | instid1(SALU_CYCLE_1)
	s_lshl_b32 s2, s2, 2
	v_and_or_b32 v10, 0x3fffffc, s2, v1
	s_mov_b32 s2, exec_lo
	s_delay_alu instid0(VALU_DEP_1)
	v_cmpx_gt_i64_e64 s[8:9], v[10:11]
	s_cbranch_execz .LBB7_35
; %bb.5:
	s_clause 0x2
	s_load_b128 s[12:15], s[0:1], 0x18
	s_load_b64 s[2:3], s[0:1], 0x38
	s_load_b64 s[8:9], s[0:1], 0x50
	v_lshlrev_b32_e32 v11, 2, v10
	s_wait_kmcnt 0x0
	s_clause 0x1
	global_load_b64 v[8:9], v11, s[12:13]
	global_load_b64 v[6:7], v11, s[2:3]
	global_load_b32 v1, v10, s[8:9] scale_offset
	s_wait_xcnt 0x1
	s_mov_b32 s2, exec_lo
	s_wait_loadcnt 0x2
	s_wait_xcnt 0x0
	v_cmpx_ge_i32_e64 v8, v9
	s_xor_b32 s2, exec_lo, s2
	s_delay_alu instid0(SALU_CYCLE_1)
	s_or_saveexec_b32 s2, s2
	v_subrev_nc_u32_e32 v8, s4, v8
	v_mov_b32_e32 v10, s10
	s_xor_b32 exec_lo, exec_lo, s2
	s_cbranch_execz .LBB7_7
; %bb.6:
	global_load_b32 v10, v8, s[14:15] scale_offset
	s_wait_loadcnt 0x0
	v_subrev_nc_u32_e32 v10, s4, v10
.LBB7_7:
	s_or_b32 exec_lo, exec_lo, s2
	s_load_b64 s[2:3], s[0:1], 0x40
	v_mov_b32_e32 v14, s10
	s_mov_b32 s7, exec_lo
	s_wait_loadcnt 0x1
	v_cmpx_ge_i32_e64 v6, v7
	s_xor_b32 s7, exec_lo, s7
; %bb.8:
	v_mov_b32_e32 v14, s10
; %bb.9:
	s_or_saveexec_b32 s7, s7
	s_load_b64 s[8:9], s[0:1], 0x58
	v_subrev_nc_u32_e32 v11, s5, v6
	s_delay_alu instid0(VALU_DEP_2)
	v_mov_b32_e32 v6, v14
	s_xor_b32 exec_lo, exec_lo, s7
	s_cbranch_execz .LBB7_11
; %bb.10:
	s_wait_kmcnt 0x0
	global_load_b32 v6, v11, s[2:3] scale_offset
	s_wait_loadcnt 0x0
	v_subrev_nc_u32_e32 v6, s5, v6
.LBB7_11:
	s_or_b32 exec_lo, exec_lo, s7
	v_and_b32_e32 v12, 0xc0, v0
	v_mbcnt_lo_u32_b32 v13, -1, 0
	v_subrev_nc_u32_e32 v18, s5, v7
	s_wait_loadcnt 0x0
	v_subrev_nc_u32_e32 v19, s6, v1
	v_bitop3_b32 v1, v0, 63, v0 bitop3:0xc
	v_dual_lshlrev_b32 v16, 3, v12 :: v_dual_bitop2_b32 v7, 32, v13 bitop3:0x54
	v_or_b32_e32 v15, 0x800, v12
	v_subrev_nc_u32_e32 v17, s4, v9
	s_clause 0x1
	s_load_b64 s[12:13], s[0:1], 0x48
	s_load_b64 s[16:17], s[0:1], 0x28
	s_wait_xcnt 0x0
	s_mov_b32 s1, 0
	v_cmp_gt_i32_e32 vcc_lo, 32, v7
	v_dual_mov_b32 v27, 0 :: v_dual_bitop2_b32 v26, 63, v0 bitop3:0x40
	v_dual_mov_b32 v28, 1 :: v_dual_cndmask_b32 v7, v13, v7
	v_min_i32_e32 v12, v6, v10
	s_delay_alu instid0(VALU_DEP_3)
	v_dual_add_nc_u32 v6, v8, v26 :: v_dual_add_nc_u32 v0, v11, v26
	v_xor_b32_e32 v11, 2, v13
	v_xor_b32_e32 v10, 16, v13
	v_lshrrev_b64 v[8:9], v1, -1
	v_lshlrev_b32_e32 v9, 2, v7
	v_lshl_or_b32 v20, v26, 3, v16
	v_add_nc_u32_e32 v26, v15, v26
	v_cmp_gt_i32_e32 vcc_lo, 32, v10
	v_dual_cndmask_b32 v7, v13, v10, vcc_lo :: v_dual_bitop2_b32 v1, 8, v13 bitop3:0x14
	v_xor_b32_e32 v10, 4, v13
	s_delay_alu instid0(VALU_DEP_2) | instskip(SKIP_1) | instid1(VALU_DEP_3)
	v_cmp_gt_i32_e32 vcc_lo, 32, v1
	v_cndmask_b32_e32 v1, v13, v1, vcc_lo
	v_cmp_gt_i32_e32 vcc_lo, 32, v10
	v_cndmask_b32_e32 v10, v13, v10, vcc_lo
	v_cmp_gt_i32_e32 vcc_lo, 32, v11
	s_delay_alu instid0(VALU_DEP_2) | instskip(SKIP_1) | instid1(VALU_DEP_2)
	v_dual_lshlrev_b32 v23, 2, v10 :: v_dual_cndmask_b32 v11, v13, v11, vcc_lo
	v_xor_b32_e32 v21, 1, v13
	v_dual_lshlrev_b32 v22, 2, v1 :: v_dual_lshlrev_b32 v24, 2, v11
	s_delay_alu instid0(VALU_DEP_2) | instskip(SKIP_2) | instid1(VALU_DEP_1)
	v_cmp_gt_i32_e32 vcc_lo, 32, v21
	v_mov_b64_e32 v[10:11], 0
	v_dual_cndmask_b32 v13, v13, v21, vcc_lo :: v_dual_lshlrev_b32 v21, 2, v7
	v_lshlrev_b32_e32 v25, 2, v13
	s_branch .LBB7_13
.LBB7_12:                               ;   in Loop: Header=BB7_13 Depth=1
	s_wait_xcnt 0x0
	s_or_b32 exec_lo, exec_lo, s6
	ds_bpermute_b32 v1, v9, v13
	s_bcnt1_i32_b32 s6, vcc_lo
	s_wait_dscnt 0x0
	v_dual_add_nc_u32 v19, s6, v19 :: v_dual_min_i32 v1, v1, v13
	ds_bpermute_b32 v7, v21, v1
	s_wait_dscnt 0x0
	v_min_i32_e32 v1, v7, v1
	ds_bpermute_b32 v7, v22, v1
	s_wait_dscnt 0x0
	v_min_i32_e32 v1, v7, v1
	;; [unrolled: 3-line block ×5, first 2 shown]
	s_delay_alu instid0(VALU_DEP_1) | instskip(NEXT) | instid1(VALU_DEP_1)
	v_ashrrev_i32_e32 v13, 31, v12
	v_cmp_le_i64_e64 s0, s[10:11], v[12:13]
	s_or_b32 s1, s0, s1
	s_delay_alu instid0(SALU_CYCLE_1)
	s_and_not1_b32 exec_lo, exec_lo, s1
	s_cbranch_execz .LBB7_35
.LBB7_13:                               ; =>This Loop Header: Depth=1
                                        ;     Child Loop BB7_16 Depth 2
                                        ;     Child Loop BB7_26 Depth 2
	v_mov_b32_e32 v13, v14
	s_mov_b32 s6, exec_lo
	ds_store_b8 v26, v27
	ds_store_b64 v20, v[10:11]
	s_wait_dscnt 0x0
	v_cmpx_lt_i32_e64 v6, v17
	s_cbranch_execz .LBB7_23
; %bb.14:                               ;   in Loop: Header=BB7_13 Depth=1
	v_mov_b32_e32 v13, v14
	s_mov_b32 s7, 0
	s_branch .LBB7_16
.LBB7_15:                               ;   in Loop: Header=BB7_16 Depth=2
	s_or_b32 exec_lo, exec_lo, s18
	s_delay_alu instid0(SALU_CYCLE_1) | instskip(NEXT) | instid1(SALU_CYCLE_1)
	s_and_b32 s0, exec_lo, s0
	s_or_b32 s7, s0, s7
	s_delay_alu instid0(SALU_CYCLE_1)
	s_and_not1_b32 exec_lo, exec_lo, s7
	s_cbranch_execz .LBB7_22
.LBB7_16:                               ;   Parent Loop BB7_13 Depth=1
                                        ; =>  This Inner Loop Header: Depth=2
	global_load_b32 v1, v6, s[14:15] scale_offset
	s_wait_loadcnt 0x0
	v_subrev_nc_u32_e32 v7, s4, v1
	s_delay_alu instid0(VALU_DEP_1) | instskip(NEXT) | instid1(VALU_DEP_1)
	v_sub_nc_u32_e32 v1, v7, v12
	v_cmp_lt_u32_e64 s0, 63, v1
	v_cmp_gt_u32_e32 vcc_lo, 64, v1
	s_wait_xcnt 0x0
	s_and_saveexec_b32 s18, s0
	s_delay_alu instid0(SALU_CYCLE_1)
	s_xor_b32 s0, exec_lo, s18
	s_cbranch_execnz .LBB7_19
; %bb.17:                               ;   in Loop: Header=BB7_16 Depth=2
	s_and_not1_saveexec_b32 s0, s0
	s_cbranch_execnz .LBB7_20
.LBB7_18:                               ;   in Loop: Header=BB7_16 Depth=2
	s_or_b32 exec_lo, exec_lo, s0
	s_mov_b32 s0, -1
	s_and_saveexec_b32 s18, vcc_lo
	s_cbranch_execz .LBB7_15
	s_branch .LBB7_21
.LBB7_19:                               ;   in Loop: Header=BB7_16 Depth=2
	v_min_i32_e32 v13, v7, v13
                                        ; implicit-def: $vgpr1
	s_and_not1_saveexec_b32 s0, s0
	s_cbranch_execz .LBB7_18
.LBB7_20:                               ;   in Loop: Header=BB7_16 Depth=2
	v_ashrrev_i32_e32 v7, 31, v6
	s_wait_kmcnt 0x0
	s_delay_alu instid0(VALU_DEP_1)
	v_lshl_add_u64 v[30:31], v[6:7], 3, s[16:17]
	v_add_nc_u32_e32 v7, v15, v1
	v_lshl_add_u32 v1, v1, 3, v16
	global_load_b64 v[30:31], v[30:31], off
	s_wait_loadcnt 0x0
	s_wait_xcnt 0x0
	v_mul_f64_e32 v[30:31], v[2:3], v[30:31]
	ds_store_b8 v7, v28
	ds_store_b64 v1, v[30:31]
	s_or_b32 exec_lo, exec_lo, s0
	s_mov_b32 s0, -1
	s_and_saveexec_b32 s18, vcc_lo
	s_cbranch_execz .LBB7_15
.LBB7_21:                               ;   in Loop: Header=BB7_16 Depth=2
	v_add_nc_u32_e32 v6, 64, v6
	s_delay_alu instid0(VALU_DEP_1)
	v_cmp_ge_i32_e32 vcc_lo, v6, v17
	s_or_not1_b32 s0, vcc_lo, exec_lo
	s_branch .LBB7_15
.LBB7_22:                               ;   in Loop: Header=BB7_13 Depth=1
	s_or_b32 exec_lo, exec_lo, s7
.LBB7_23:                               ;   in Loop: Header=BB7_13 Depth=1
	s_delay_alu instid0(SALU_CYCLE_1) | instskip(NEXT) | instid1(SALU_CYCLE_1)
	s_or_b32 exec_lo, exec_lo, s6
	s_mov_b32 s6, exec_lo
	s_wait_dscnt 0x0
	v_cmpx_lt_i32_e64 v0, v18
	s_cbranch_execz .LBB7_33
; %bb.24:                               ;   in Loop: Header=BB7_13 Depth=1
	s_mov_b32 s7, 0
	s_branch .LBB7_26
.LBB7_25:                               ;   in Loop: Header=BB7_26 Depth=2
	s_or_b32 exec_lo, exec_lo, s18
	s_delay_alu instid0(SALU_CYCLE_1) | instskip(NEXT) | instid1(SALU_CYCLE_1)
	s_and_b32 s0, exec_lo, s0
	s_or_b32 s7, s0, s7
	s_delay_alu instid0(SALU_CYCLE_1)
	s_and_not1_b32 exec_lo, exec_lo, s7
	s_cbranch_execz .LBB7_32
.LBB7_26:                               ;   Parent Loop BB7_13 Depth=1
                                        ; =>  This Inner Loop Header: Depth=2
	s_wait_kmcnt 0x0
	global_load_b32 v1, v0, s[2:3] scale_offset
	s_wait_loadcnt 0x0
	v_subrev_nc_u32_e32 v1, s5, v1
	s_delay_alu instid0(VALU_DEP_1) | instskip(NEXT) | instid1(VALU_DEP_1)
	v_sub_nc_u32_e32 v7, v1, v12
	v_cmp_lt_u32_e64 s0, 63, v7
	v_cmp_gt_u32_e32 vcc_lo, 64, v7
	s_wait_xcnt 0x0
	s_and_saveexec_b32 s18, s0
	s_delay_alu instid0(SALU_CYCLE_1)
	s_xor_b32 s0, exec_lo, s18
	s_cbranch_execnz .LBB7_29
; %bb.27:                               ;   in Loop: Header=BB7_26 Depth=2
	s_and_not1_saveexec_b32 s0, s0
	s_cbranch_execnz .LBB7_30
.LBB7_28:                               ;   in Loop: Header=BB7_26 Depth=2
	s_or_b32 exec_lo, exec_lo, s0
	s_mov_b32 s0, -1
	s_and_saveexec_b32 s18, vcc_lo
	s_cbranch_execz .LBB7_25
	s_branch .LBB7_31
.LBB7_29:                               ;   in Loop: Header=BB7_26 Depth=2
	v_min_i32_e32 v13, v1, v13
                                        ; implicit-def: $vgpr7
	s_and_not1_saveexec_b32 s0, s0
	s_cbranch_execz .LBB7_28
.LBB7_30:                               ;   in Loop: Header=BB7_26 Depth=2
	v_ashrrev_i32_e32 v1, 31, v0
	s_delay_alu instid0(VALU_DEP_1)
	v_lshl_add_u64 v[30:31], v[0:1], 3, s[12:13]
	v_lshl_add_u32 v1, v7, 3, v16
	v_add_nc_u32_e32 v7, v15, v7
	global_load_b64 v[30:31], v[30:31], off
	ds_load_b64 v[32:33], v1
	s_wait_loadcnt_dscnt 0x0
	v_fmac_f64_e32 v[32:33], v[4:5], v[30:31]
	ds_store_b8 v7, v28
	ds_store_b64 v1, v[32:33]
	s_wait_xcnt 0x0
	s_or_b32 exec_lo, exec_lo, s0
	s_mov_b32 s0, -1
	s_and_saveexec_b32 s18, vcc_lo
	s_cbranch_execz .LBB7_25
.LBB7_31:                               ;   in Loop: Header=BB7_26 Depth=2
	v_add_nc_u32_e32 v0, 64, v0
	s_delay_alu instid0(VALU_DEP_1)
	v_cmp_ge_i32_e32 vcc_lo, v0, v18
	s_or_not1_b32 s0, vcc_lo, exec_lo
	s_branch .LBB7_25
.LBB7_32:                               ;   in Loop: Header=BB7_13 Depth=1
	s_or_b32 exec_lo, exec_lo, s7
.LBB7_33:                               ;   in Loop: Header=BB7_13 Depth=1
	s_delay_alu instid0(SALU_CYCLE_1)
	s_or_b32 exec_lo, exec_lo, s6
	s_wait_dscnt 0x0
	ds_load_u8 v1, v26
	s_mov_b32 s6, exec_lo
	s_wait_dscnt 0x0
	v_and_b32_e32 v7, 1, v1
	v_cmp_ne_u16_e32 vcc_lo, 0, v1
	s_delay_alu instid0(VALU_DEP_2)
	v_cmpx_eq_u32_e32 1, v7
	s_cbranch_execz .LBB7_12
; %bb.34:                               ;   in Loop: Header=BB7_13 Depth=1
	ds_load_b64 v[30:31], v20
	v_and_b32_e32 v1, vcc_lo, v8
	s_delay_alu instid0(VALU_DEP_1) | instskip(NEXT) | instid1(VALU_DEP_1)
	v_bcnt_u32_b32 v1, v1, 0
	v_add3_u32 v1, v19, v1, -1
	s_wait_dscnt 0x0
	s_wait_kmcnt 0x0
	global_store_b64 v1, v[30:31], s[8:9] scale_offset
	s_branch .LBB7_12
.LBB7_35:
	s_endpgm
	.section	.rodata,"a",@progbits
	.p2align	6, 0x0
	.amdhsa_kernel _ZN9rocsparseL37csrgeam_fill_numeric_multipass_kernelILj256ELj64EiidEEvllNS_24const_host_device_scalarIT3_EEPKT1_PKT2_PKS2_S3_S6_S9_SB_S6_PS2_21rocsparse_index_base_SD_SD_bbb
		.amdhsa_group_segment_fixed_size 2304
		.amdhsa_private_segment_fixed_size 0
		.amdhsa_kernarg_size 112
		.amdhsa_user_sgpr_count 2
		.amdhsa_user_sgpr_dispatch_ptr 0
		.amdhsa_user_sgpr_queue_ptr 0
		.amdhsa_user_sgpr_kernarg_segment_ptr 1
		.amdhsa_user_sgpr_dispatch_id 0
		.amdhsa_user_sgpr_kernarg_preload_length 0
		.amdhsa_user_sgpr_kernarg_preload_offset 0
		.amdhsa_user_sgpr_private_segment_size 0
		.amdhsa_wavefront_size32 1
		.amdhsa_uses_dynamic_stack 0
		.amdhsa_enable_private_segment 0
		.amdhsa_system_sgpr_workgroup_id_x 1
		.amdhsa_system_sgpr_workgroup_id_y 0
		.amdhsa_system_sgpr_workgroup_id_z 0
		.amdhsa_system_sgpr_workgroup_info 0
		.amdhsa_system_vgpr_workitem_id 0
		.amdhsa_next_free_vgpr 34
		.amdhsa_next_free_sgpr 19
		.amdhsa_named_barrier_count 0
		.amdhsa_reserve_vcc 1
		.amdhsa_float_round_mode_32 0
		.amdhsa_float_round_mode_16_64 0
		.amdhsa_float_denorm_mode_32 3
		.amdhsa_float_denorm_mode_16_64 3
		.amdhsa_fp16_overflow 0
		.amdhsa_memory_ordered 1
		.amdhsa_forward_progress 1
		.amdhsa_inst_pref_size 13
		.amdhsa_round_robin_scheduling 0
		.amdhsa_exception_fp_ieee_invalid_op 0
		.amdhsa_exception_fp_denorm_src 0
		.amdhsa_exception_fp_ieee_div_zero 0
		.amdhsa_exception_fp_ieee_overflow 0
		.amdhsa_exception_fp_ieee_underflow 0
		.amdhsa_exception_fp_ieee_inexact 0
		.amdhsa_exception_int_div_zero 0
	.end_amdhsa_kernel
	.section	.text._ZN9rocsparseL37csrgeam_fill_numeric_multipass_kernelILj256ELj64EiidEEvllNS_24const_host_device_scalarIT3_EEPKT1_PKT2_PKS2_S3_S6_S9_SB_S6_PS2_21rocsparse_index_base_SD_SD_bbb,"axG",@progbits,_ZN9rocsparseL37csrgeam_fill_numeric_multipass_kernelILj256ELj64EiidEEvllNS_24const_host_device_scalarIT3_EEPKT1_PKT2_PKS2_S3_S6_S9_SB_S6_PS2_21rocsparse_index_base_SD_SD_bbb,comdat
.Lfunc_end7:
	.size	_ZN9rocsparseL37csrgeam_fill_numeric_multipass_kernelILj256ELj64EiidEEvllNS_24const_host_device_scalarIT3_EEPKT1_PKT2_PKS2_S3_S6_S9_SB_S6_PS2_21rocsparse_index_base_SD_SD_bbb, .Lfunc_end7-_ZN9rocsparseL37csrgeam_fill_numeric_multipass_kernelILj256ELj64EiidEEvllNS_24const_host_device_scalarIT3_EEPKT1_PKT2_PKS2_S3_S6_S9_SB_S6_PS2_21rocsparse_index_base_SD_SD_bbb
                                        ; -- End function
	.set _ZN9rocsparseL37csrgeam_fill_numeric_multipass_kernelILj256ELj64EiidEEvllNS_24const_host_device_scalarIT3_EEPKT1_PKT2_PKS2_S3_S6_S9_SB_S6_PS2_21rocsparse_index_base_SD_SD_bbb.num_vgpr, 34
	.set _ZN9rocsparseL37csrgeam_fill_numeric_multipass_kernelILj256ELj64EiidEEvllNS_24const_host_device_scalarIT3_EEPKT1_PKT2_PKS2_S3_S6_S9_SB_S6_PS2_21rocsparse_index_base_SD_SD_bbb.num_agpr, 0
	.set _ZN9rocsparseL37csrgeam_fill_numeric_multipass_kernelILj256ELj64EiidEEvllNS_24const_host_device_scalarIT3_EEPKT1_PKT2_PKS2_S3_S6_S9_SB_S6_PS2_21rocsparse_index_base_SD_SD_bbb.numbered_sgpr, 19
	.set _ZN9rocsparseL37csrgeam_fill_numeric_multipass_kernelILj256ELj64EiidEEvllNS_24const_host_device_scalarIT3_EEPKT1_PKT2_PKS2_S3_S6_S9_SB_S6_PS2_21rocsparse_index_base_SD_SD_bbb.num_named_barrier, 0
	.set _ZN9rocsparseL37csrgeam_fill_numeric_multipass_kernelILj256ELj64EiidEEvllNS_24const_host_device_scalarIT3_EEPKT1_PKT2_PKS2_S3_S6_S9_SB_S6_PS2_21rocsparse_index_base_SD_SD_bbb.private_seg_size, 0
	.set _ZN9rocsparseL37csrgeam_fill_numeric_multipass_kernelILj256ELj64EiidEEvllNS_24const_host_device_scalarIT3_EEPKT1_PKT2_PKS2_S3_S6_S9_SB_S6_PS2_21rocsparse_index_base_SD_SD_bbb.uses_vcc, 1
	.set _ZN9rocsparseL37csrgeam_fill_numeric_multipass_kernelILj256ELj64EiidEEvllNS_24const_host_device_scalarIT3_EEPKT1_PKT2_PKS2_S3_S6_S9_SB_S6_PS2_21rocsparse_index_base_SD_SD_bbb.uses_flat_scratch, 0
	.set _ZN9rocsparseL37csrgeam_fill_numeric_multipass_kernelILj256ELj64EiidEEvllNS_24const_host_device_scalarIT3_EEPKT1_PKT2_PKS2_S3_S6_S9_SB_S6_PS2_21rocsparse_index_base_SD_SD_bbb.has_dyn_sized_stack, 0
	.set _ZN9rocsparseL37csrgeam_fill_numeric_multipass_kernelILj256ELj64EiidEEvllNS_24const_host_device_scalarIT3_EEPKT1_PKT2_PKS2_S3_S6_S9_SB_S6_PS2_21rocsparse_index_base_SD_SD_bbb.has_recursion, 0
	.set _ZN9rocsparseL37csrgeam_fill_numeric_multipass_kernelILj256ELj64EiidEEvllNS_24const_host_device_scalarIT3_EEPKT1_PKT2_PKS2_S3_S6_S9_SB_S6_PS2_21rocsparse_index_base_SD_SD_bbb.has_indirect_call, 0
	.section	.AMDGPU.csdata,"",@progbits
; Kernel info:
; codeLenInByte = 1624
; TotalNumSgprs: 21
; NumVgprs: 34
; ScratchSize: 0
; MemoryBound: 0
; FloatMode: 240
; IeeeMode: 1
; LDSByteSize: 2304 bytes/workgroup (compile time only)
; SGPRBlocks: 0
; VGPRBlocks: 2
; NumSGPRsForWavesPerEU: 21
; NumVGPRsForWavesPerEU: 34
; NamedBarCnt: 0
; Occupancy: 16
; WaveLimiterHint : 1
; COMPUTE_PGM_RSRC2:SCRATCH_EN: 0
; COMPUTE_PGM_RSRC2:USER_SGPR: 2
; COMPUTE_PGM_RSRC2:TRAP_HANDLER: 0
; COMPUTE_PGM_RSRC2:TGID_X_EN: 1
; COMPUTE_PGM_RSRC2:TGID_Y_EN: 0
; COMPUTE_PGM_RSRC2:TGID_Z_EN: 0
; COMPUTE_PGM_RSRC2:TIDIG_COMP_CNT: 0
	.section	.text._ZN9rocsparseL37csrgeam_fill_numeric_multipass_kernelILj256ELj32ElidEEvllNS_24const_host_device_scalarIT3_EEPKT1_PKT2_PKS2_S3_S6_S9_SB_S6_PS2_21rocsparse_index_base_SD_SD_bbb,"axG",@progbits,_ZN9rocsparseL37csrgeam_fill_numeric_multipass_kernelILj256ELj32ElidEEvllNS_24const_host_device_scalarIT3_EEPKT1_PKT2_PKS2_S3_S6_S9_SB_S6_PS2_21rocsparse_index_base_SD_SD_bbb,comdat
	.globl	_ZN9rocsparseL37csrgeam_fill_numeric_multipass_kernelILj256ELj32ElidEEvllNS_24const_host_device_scalarIT3_EEPKT1_PKT2_PKS2_S3_S6_S9_SB_S6_PS2_21rocsparse_index_base_SD_SD_bbb ; -- Begin function _ZN9rocsparseL37csrgeam_fill_numeric_multipass_kernelILj256ELj32ElidEEvllNS_24const_host_device_scalarIT3_EEPKT1_PKT2_PKS2_S3_S6_S9_SB_S6_PS2_21rocsparse_index_base_SD_SD_bbb
	.p2align	8
	.type	_ZN9rocsparseL37csrgeam_fill_numeric_multipass_kernelILj256ELj32ElidEEvllNS_24const_host_device_scalarIT3_EEPKT1_PKT2_PKS2_S3_S6_S9_SB_S6_PS2_21rocsparse_index_base_SD_SD_bbb,@function
_ZN9rocsparseL37csrgeam_fill_numeric_multipass_kernelILj256ELj32ElidEEvllNS_24const_host_device_scalarIT3_EEPKT1_PKT2_PKS2_S3_S6_S9_SB_S6_PS2_21rocsparse_index_base_SD_SD_bbb: ; @_ZN9rocsparseL37csrgeam_fill_numeric_multipass_kernelILj256ELj32ElidEEvllNS_24const_host_device_scalarIT3_EEPKT1_PKT2_PKS2_S3_S6_S9_SB_S6_PS2_21rocsparse_index_base_SD_SD_bbb
; %bb.0:
	s_clause 0x4
	s_load_b128 s[4:7], s[0:1], 0x60
	s_load_b32 s14, s[0:1], 0x6c
	s_load_b64 s[12:13], s[0:1], 0x10
	s_load_b64 s[2:3], s[0:1], 0x30
	s_load_b128 s[8:11], s[0:1], 0x0
	s_wait_kmcnt 0x0
	s_bitcmp1_b32 s7, 0
	s_cselect_b32 s15, -1, 0
	s_bitcmp1_b32 s14, 16
	s_cselect_b32 s7, -1, 0
	s_xor_b32 s16, s15, -1
	s_delay_alu instid0(SALU_CYCLE_1)
	s_or_b32 s18, s7, s16
	s_and_b32 s15, s15, exec_lo
	s_cselect_b32 s17, s13, 0
	s_cselect_b32 s16, s12, 0
	s_and_b32 vcc_lo, exec_lo, s18
	v_mov_b64_e32 v[10:11], s[16:17]
	s_cbranch_vccnz .LBB8_2
; %bb.1:
	v_mov_b32_e32 v1, 0
	flat_load_b64 v[10:11], v1, s[12:13]
.LBB8_2:
	s_bitcmp1_b32 s14, 8
	s_wait_xcnt 0x0
	s_cselect_b32 s12, -1, 0
	s_delay_alu instid0(SALU_CYCLE_1) | instskip(NEXT) | instid1(SALU_CYCLE_1)
	s_xor_b32 s13, s12, -1
	s_or_b32 s7, s7, s13
	s_and_b32 s12, s12, exec_lo
	s_cselect_b32 s13, s3, 0
	s_cselect_b32 s12, s2, 0
	s_and_b32 vcc_lo, exec_lo, s7
	v_mov_b64_e32 v[12:13], s[12:13]
	s_cbranch_vccnz .LBB8_4
; %bb.3:
	v_mov_b32_e32 v1, 0
	flat_load_b64 v[12:13], v1, s[2:3]
.LBB8_4:
	s_wait_xcnt 0x0
	s_bfe_u32 s2, ttmp6, 0x4000c
	s_and_b32 s3, ttmp6, 15
	s_add_co_i32 s2, s2, 1
	s_getreg_b32 s7, hwreg(HW_REG_IB_STS2, 6, 4)
	s_mul_i32 s2, ttmp9, s2
	v_dual_lshrrev_b32 v1, 5, v0 :: v_dual_mov_b32 v17, 0
	s_add_co_i32 s3, s3, s2
	s_cmp_eq_u32 s7, 0
	s_mov_b32 s19, 0
	s_cselect_b32 s2, ttmp9, s3
	s_delay_alu instid0(SALU_CYCLE_1) | instskip(NEXT) | instid1(SALU_CYCLE_1)
	s_lshl_b32 s2, s2, 3
	v_and_or_b32 v16, 0x7fffff8, s2, v1
	s_mov_b32 s2, exec_lo
	s_delay_alu instid0(VALU_DEP_1)
	v_cmpx_gt_i64_e64 s[8:9], v[16:17]
	s_cbranch_execz .LBB8_35
; %bb.5:
	s_clause 0x2
	s_load_b64 s[2:3], s[0:1], 0x18
	s_load_b64 s[8:9], s[0:1], 0x38
	;; [unrolled: 1-line block ×3, first 2 shown]
	v_lshlrev_b32_e32 v1, 3, v16
	s_mov_b32 s18, s4
	s_wait_kmcnt 0x0
	s_clause 0x1
	global_load_b128 v[2:5], v1, s[2:3]
	global_load_b128 v[6:9], v1, s[8:9]
	global_load_b64 v[14:15], v16, s[12:13] scale_offset
	s_wait_xcnt 0x2
	s_mov_b32 s2, exec_lo
	s_wait_loadcnt 0x2
	s_wait_xcnt 0x0
	v_cmpx_ge_i64_e64 v[2:3], v[4:5]
	s_xor_b32 s2, exec_lo, s2
	s_delay_alu instid0(SALU_CYCLE_1)
	s_or_saveexec_b32 s7, s2
	s_load_b64 s[2:3], s[0:1], 0x20
	v_sub_nc_u64_e64 v[16:17], v[2:3], s[18:19]
	v_mov_b32_e32 v1, s10
	s_xor_b32 exec_lo, exec_lo, s7
	s_cbranch_execz .LBB8_7
; %bb.6:
	s_wait_kmcnt 0x0
	s_delay_alu instid0(VALU_DEP_2)
	v_lshl_add_u64 v[2:3], v[16:17], 2, s[2:3]
	global_load_b32 v1, v[2:3], off
	s_wait_loadcnt 0x0
	v_subrev_nc_u32_e32 v1, s4, v1
.LBB8_7:
	s_or_b32 exec_lo, exec_lo, s7
	v_mov_b32_e32 v24, s10
	s_mov_b32 s21, 0
	s_mov_b32 s20, s5
	s_mov_b32 s7, exec_lo
	s_wait_loadcnt 0x1
	v_cmpx_ge_i64_e64 v[6:7], v[8:9]
	s_xor_b32 s7, exec_lo, s7
; %bb.8:
	v_mov_b32_e32 v24, s10
; %bb.9:
	s_or_saveexec_b32 s7, s7
	s_load_b64 s[8:9], s[0:1], 0x40
	v_sub_nc_u64_e64 v[20:21], v[6:7], s[20:21]
	s_delay_alu instid0(VALU_DEP_2)
	v_mov_b32_e32 v18, v24
	s_xor_b32 exec_lo, exec_lo, s7
	s_cbranch_execz .LBB8_11
; %bb.10:
	s_wait_kmcnt 0x0
	s_delay_alu instid0(VALU_DEP_2)
	v_lshl_add_u64 v[2:3], v[20:21], 2, s[8:9]
	global_load_b32 v2, v[2:3], off
	s_wait_loadcnt 0x0
	v_subrev_nc_u32_e32 v18, s5, v2
.LBB8_11:
	s_or_b32 exec_lo, exec_lo, s7
	v_and_b32_e32 v2, 0xe0, v0
	s_delay_alu instid0(VALU_DEP_2) | instskip(SKIP_2) | instid1(VALU_DEP_4)
	v_dual_mov_b32 v7, 0 :: v_dual_min_i32 v18, v18, v1
	v_mbcnt_lo_u32_b32 v19, -1, 0
	v_bitop3_b32 v22, v0, 31, v0 bitop3:0xc
	v_dual_lshlrev_b32 v26, 3, v2 :: v_dual_bitop2_b32 v6, 31, v0 bitop3:0x40
	s_mov_b32 s7, 0
	v_or_b32_e32 v25, 0x800, v2
	v_sub_nc_u64_e64 v[2:3], v[4:5], s[18:19]
	v_sub_nc_u64_e64 v[4:5], v[8:9], s[20:21]
	v_add_nc_u64_e32 v[0:1], v[16:17], v[6:7]
	v_xor_b32_e32 v17, 8, v19
	v_xor_b32_e32 v16, 16, v19
	s_wait_loadcnt 0x0
	v_sub_nc_u64_e64 v[8:9], v[14:15], s[6:7]
	v_add_nc_u64_e32 v[14:15], v[20:21], v[6:7]
	v_xor_b32_e32 v21, 2, v19
	v_xor_b32_e32 v20, 4, v19
	v_cmp_gt_i32_e32 vcc_lo, 32, v16
	s_clause 0x2
	s_load_b64 s[12:13], s[0:1], 0x58
	s_load_b64 s[14:15], s[0:1], 0x48
	;; [unrolled: 1-line block ×3, first 2 shown]
	v_lshrrev_b32_e64 v28, v22, -1
	v_lshl_or_b32 v27, v6, 3, v26
	v_dual_mov_b32 v35, 1 :: v_dual_cndmask_b32 v16, v19, v16
	v_cmp_gt_i32_e32 vcc_lo, 32, v17
	v_xor_b32_e32 v22, 1, v19
	s_wait_xcnt 0x0
	s_mov_b32 s1, 0
	v_dual_add_nc_u32 v34, v25, v6 :: v_dual_lshlrev_b32 v29, 2, v16
	v_cndmask_b32_e32 v17, v19, v17, vcc_lo
	v_cmp_gt_i32_e32 vcc_lo, 32, v20
	s_delay_alu instid0(VALU_DEP_2) | instskip(SKIP_4) | instid1(VALU_DEP_2)
	v_dual_lshlrev_b32 v30, 2, v17 :: v_dual_cndmask_b32 v20, v19, v20, vcc_lo
	v_cmp_gt_i32_e32 vcc_lo, 32, v21
	v_mov_b64_e32 v[16:17], 0
	v_cndmask_b32_e32 v21, v19, v21, vcc_lo
	v_cmp_gt_i32_e32 vcc_lo, 32, v22
	v_dual_lshlrev_b32 v31, 2, v20 :: v_dual_lshlrev_b32 v32, 2, v21
	v_cndmask_b32_e32 v19, v19, v22, vcc_lo
	s_delay_alu instid0(VALU_DEP_1)
	v_lshlrev_b32_e32 v33, 2, v19
	s_branch .LBB8_13
.LBB8_12:                               ;   in Loop: Header=BB8_13 Depth=1
	s_wait_xcnt 0x0
	s_or_b32 exec_lo, exec_lo, s6
	ds_bpermute_b32 v6, v29, v19
	s_bcnt1_i32_b32 s6, vcc_lo
	s_delay_alu instid0(SALU_CYCLE_1)
	v_add_nc_u64_e32 v[8:9], s[6:7], v[8:9]
	s_wait_dscnt 0x0
	v_min_i32_e32 v6, v6, v19
	ds_bpermute_b32 v18, v30, v6
	s_wait_dscnt 0x0
	v_min_i32_e32 v6, v18, v6
	ds_bpermute_b32 v18, v31, v6
	;; [unrolled: 3-line block ×4, first 2 shown]
	s_wait_dscnt 0x0
	v_min_i32_e32 v18, v18, v6
	s_delay_alu instid0(VALU_DEP_1) | instskip(NEXT) | instid1(VALU_DEP_1)
	v_ashrrev_i32_e32 v19, 31, v18
	v_cmp_le_i64_e64 s0, s[10:11], v[18:19]
	s_or_b32 s1, s0, s1
	s_delay_alu instid0(SALU_CYCLE_1)
	s_and_not1_b32 exec_lo, exec_lo, s1
	s_cbranch_execz .LBB8_35
.LBB8_13:                               ; =>This Loop Header: Depth=1
                                        ;     Child Loop BB8_16 Depth 2
                                        ;     Child Loop BB8_26 Depth 2
	v_mov_b32_e32 v19, v24
	s_mov_b32 s6, exec_lo
	ds_store_b8 v34, v7
	ds_store_b64 v27, v[16:17]
	s_wait_dscnt 0x0
	v_cmpx_lt_i64_e64 v[0:1], v[2:3]
	s_cbranch_execz .LBB8_23
; %bb.14:                               ;   in Loop: Header=BB8_13 Depth=1
	s_wait_kmcnt 0x0
	v_lshl_add_u64 v[20:21], v[0:1], 2, s[2:3]
	v_lshl_add_u64 v[22:23], v[0:1], 3, s[16:17]
	v_mov_b32_e32 v19, v24
	s_mov_b32 s18, 0
	s_branch .LBB8_16
.LBB8_15:                               ;   in Loop: Header=BB8_16 Depth=2
	s_or_b32 exec_lo, exec_lo, s19
	s_delay_alu instid0(SALU_CYCLE_1) | instskip(NEXT) | instid1(SALU_CYCLE_1)
	s_and_b32 s0, exec_lo, s0
	s_or_b32 s18, s0, s18
	s_delay_alu instid0(SALU_CYCLE_1)
	s_and_not1_b32 exec_lo, exec_lo, s18
	s_cbranch_execz .LBB8_22
.LBB8_16:                               ;   Parent Loop BB8_13 Depth=1
                                        ; =>  This Inner Loop Header: Depth=2
	global_load_b32 v6, v[20:21], off
	s_wait_loadcnt 0x0
	v_subrev_nc_u32_e32 v36, s4, v6
	s_delay_alu instid0(VALU_DEP_1) | instskip(NEXT) | instid1(VALU_DEP_1)
	v_sub_nc_u32_e32 v6, v36, v18
	v_cmp_lt_u32_e64 s0, 31, v6
	v_cmp_gt_u32_e32 vcc_lo, 32, v6
	s_wait_xcnt 0x0
	s_and_saveexec_b32 s19, s0
	s_delay_alu instid0(SALU_CYCLE_1)
	s_xor_b32 s0, exec_lo, s19
	s_cbranch_execnz .LBB8_19
; %bb.17:                               ;   in Loop: Header=BB8_16 Depth=2
	s_and_not1_saveexec_b32 s0, s0
	s_cbranch_execnz .LBB8_20
.LBB8_18:                               ;   in Loop: Header=BB8_16 Depth=2
	s_or_b32 exec_lo, exec_lo, s0
	s_mov_b32 s0, -1
	s_and_saveexec_b32 s19, vcc_lo
	s_cbranch_execz .LBB8_15
	s_branch .LBB8_21
.LBB8_19:                               ;   in Loop: Header=BB8_16 Depth=2
	v_min_i32_e32 v19, v36, v19
                                        ; implicit-def: $vgpr6
	s_and_not1_saveexec_b32 s0, s0
	s_cbranch_execz .LBB8_18
.LBB8_20:                               ;   in Loop: Header=BB8_16 Depth=2
	global_load_b64 v[36:37], v[22:23], off
	v_add_nc_u32_e32 v38, v25, v6
	v_lshl_add_u32 v6, v6, 3, v26
	s_wait_loadcnt 0x0
	v_mul_f64_e32 v[36:37], v[10:11], v[36:37]
	ds_store_b8 v38, v35
	ds_store_b64 v6, v[36:37]
	s_wait_xcnt 0x0
	s_or_b32 exec_lo, exec_lo, s0
	s_mov_b32 s0, -1
	s_and_saveexec_b32 s19, vcc_lo
	s_cbranch_execz .LBB8_15
.LBB8_21:                               ;   in Loop: Header=BB8_16 Depth=2
	v_add_nc_u64_e32 v[0:1], 32, v[0:1]
	v_add_nc_u64_e32 v[20:21], 0x80, v[20:21]
	;; [unrolled: 1-line block ×3, first 2 shown]
	s_delay_alu instid0(VALU_DEP_3)
	v_cmp_ge_i64_e32 vcc_lo, v[0:1], v[2:3]
	s_or_not1_b32 s0, vcc_lo, exec_lo
	s_branch .LBB8_15
.LBB8_22:                               ;   in Loop: Header=BB8_13 Depth=1
	s_or_b32 exec_lo, exec_lo, s18
.LBB8_23:                               ;   in Loop: Header=BB8_13 Depth=1
	s_delay_alu instid0(SALU_CYCLE_1) | instskip(NEXT) | instid1(SALU_CYCLE_1)
	s_or_b32 exec_lo, exec_lo, s6
	s_mov_b32 s6, exec_lo
	s_wait_dscnt 0x0
	v_cmpx_lt_i64_e64 v[14:15], v[4:5]
	s_cbranch_execz .LBB8_33
; %bb.24:                               ;   in Loop: Header=BB8_13 Depth=1
	s_wait_kmcnt 0x0
	v_lshl_add_u64 v[20:21], v[14:15], 2, s[8:9]
	v_lshl_add_u64 v[22:23], v[14:15], 3, s[14:15]
	s_mov_b32 s18, 0
	s_branch .LBB8_26
.LBB8_25:                               ;   in Loop: Header=BB8_26 Depth=2
	s_or_b32 exec_lo, exec_lo, s19
	s_delay_alu instid0(SALU_CYCLE_1) | instskip(NEXT) | instid1(SALU_CYCLE_1)
	s_and_b32 s0, exec_lo, s0
	s_or_b32 s18, s0, s18
	s_delay_alu instid0(SALU_CYCLE_1)
	s_and_not1_b32 exec_lo, exec_lo, s18
	s_cbranch_execz .LBB8_32
.LBB8_26:                               ;   Parent Loop BB8_13 Depth=1
                                        ; =>  This Inner Loop Header: Depth=2
	global_load_b32 v6, v[20:21], off
	s_wait_loadcnt 0x0
	v_subrev_nc_u32_e32 v36, s5, v6
	s_delay_alu instid0(VALU_DEP_1) | instskip(NEXT) | instid1(VALU_DEP_1)
	v_sub_nc_u32_e32 v6, v36, v18
	v_cmp_lt_u32_e64 s0, 31, v6
	v_cmp_gt_u32_e32 vcc_lo, 32, v6
	s_wait_xcnt 0x0
	s_and_saveexec_b32 s19, s0
	s_delay_alu instid0(SALU_CYCLE_1)
	s_xor_b32 s0, exec_lo, s19
	s_cbranch_execnz .LBB8_29
; %bb.27:                               ;   in Loop: Header=BB8_26 Depth=2
	s_and_not1_saveexec_b32 s0, s0
	s_cbranch_execnz .LBB8_30
.LBB8_28:                               ;   in Loop: Header=BB8_26 Depth=2
	s_or_b32 exec_lo, exec_lo, s0
	s_mov_b32 s0, -1
	s_and_saveexec_b32 s19, vcc_lo
	s_cbranch_execz .LBB8_25
	s_branch .LBB8_31
.LBB8_29:                               ;   in Loop: Header=BB8_26 Depth=2
	v_min_i32_e32 v19, v36, v19
                                        ; implicit-def: $vgpr6
	s_and_not1_saveexec_b32 s0, s0
	s_cbranch_execz .LBB8_28
.LBB8_30:                               ;   in Loop: Header=BB8_26 Depth=2
	global_load_b64 v[36:37], v[22:23], off
	v_lshl_add_u32 v40, v6, 3, v26
	v_add_nc_u32_e32 v6, v25, v6
	ds_load_b64 v[38:39], v40
	s_wait_loadcnt_dscnt 0x0
	v_fmac_f64_e32 v[38:39], v[12:13], v[36:37]
	ds_store_b8 v6, v35
	ds_store_b64 v40, v[38:39]
	s_wait_xcnt 0x0
	s_or_b32 exec_lo, exec_lo, s0
	s_mov_b32 s0, -1
	s_and_saveexec_b32 s19, vcc_lo
	s_cbranch_execz .LBB8_25
.LBB8_31:                               ;   in Loop: Header=BB8_26 Depth=2
	v_add_nc_u64_e32 v[14:15], 32, v[14:15]
	v_add_nc_u64_e32 v[20:21], 0x80, v[20:21]
	;; [unrolled: 1-line block ×3, first 2 shown]
	s_delay_alu instid0(VALU_DEP_3)
	v_cmp_ge_i64_e32 vcc_lo, v[14:15], v[4:5]
	s_or_not1_b32 s0, vcc_lo, exec_lo
	s_branch .LBB8_25
.LBB8_32:                               ;   in Loop: Header=BB8_13 Depth=1
	s_or_b32 exec_lo, exec_lo, s18
.LBB8_33:                               ;   in Loop: Header=BB8_13 Depth=1
	s_delay_alu instid0(SALU_CYCLE_1)
	s_or_b32 exec_lo, exec_lo, s6
	s_wait_dscnt 0x0
	ds_load_u8 v6, v34
	s_mov_b32 s6, exec_lo
	s_wait_dscnt 0x0
	v_and_b32_e32 v18, 1, v6
	v_cmp_ne_u16_e32 vcc_lo, 0, v6
	s_delay_alu instid0(VALU_DEP_2)
	v_cmpx_eq_u32_e32 1, v18
	s_cbranch_execz .LBB8_12
; %bb.34:                               ;   in Loop: Header=BB8_13 Depth=1
	v_and_b32_e32 v6, vcc_lo, v28
	ds_load_b64 v[20:21], v27
	s_wait_kmcnt 0x0
	v_lshl_add_u64 v[22:23], v[8:9], 3, s[12:13]
	v_bcnt_u32_b32 v6, v6, 0
	s_delay_alu instid0(VALU_DEP_1) | instskip(NEXT) | instid1(VALU_DEP_1)
	v_lshlrev_b32_e32 v6, 3, v6
	v_add_nc_u64_e32 v[22:23], v[22:23], v[6:7]
	s_wait_dscnt 0x0
	global_store_b64 v[22:23], v[20:21], off offset:-8
	s_branch .LBB8_12
.LBB8_35:
	s_endpgm
	.section	.rodata,"a",@progbits
	.p2align	6, 0x0
	.amdhsa_kernel _ZN9rocsparseL37csrgeam_fill_numeric_multipass_kernelILj256ELj32ElidEEvllNS_24const_host_device_scalarIT3_EEPKT1_PKT2_PKS2_S3_S6_S9_SB_S6_PS2_21rocsparse_index_base_SD_SD_bbb
		.amdhsa_group_segment_fixed_size 2304
		.amdhsa_private_segment_fixed_size 0
		.amdhsa_kernarg_size 112
		.amdhsa_user_sgpr_count 2
		.amdhsa_user_sgpr_dispatch_ptr 0
		.amdhsa_user_sgpr_queue_ptr 0
		.amdhsa_user_sgpr_kernarg_segment_ptr 1
		.amdhsa_user_sgpr_dispatch_id 0
		.amdhsa_user_sgpr_kernarg_preload_length 0
		.amdhsa_user_sgpr_kernarg_preload_offset 0
		.amdhsa_user_sgpr_private_segment_size 0
		.amdhsa_wavefront_size32 1
		.amdhsa_uses_dynamic_stack 0
		.amdhsa_enable_private_segment 0
		.amdhsa_system_sgpr_workgroup_id_x 1
		.amdhsa_system_sgpr_workgroup_id_y 0
		.amdhsa_system_sgpr_workgroup_id_z 0
		.amdhsa_system_sgpr_workgroup_info 0
		.amdhsa_system_vgpr_workitem_id 0
		.amdhsa_next_free_vgpr 41
		.amdhsa_next_free_sgpr 22
		.amdhsa_named_barrier_count 0
		.amdhsa_reserve_vcc 1
		.amdhsa_float_round_mode_32 0
		.amdhsa_float_round_mode_16_64 0
		.amdhsa_float_denorm_mode_32 3
		.amdhsa_float_denorm_mode_16_64 3
		.amdhsa_fp16_overflow 0
		.amdhsa_memory_ordered 1
		.amdhsa_forward_progress 1
		.amdhsa_inst_pref_size 14
		.amdhsa_round_robin_scheduling 0
		.amdhsa_exception_fp_ieee_invalid_op 0
		.amdhsa_exception_fp_denorm_src 0
		.amdhsa_exception_fp_ieee_div_zero 0
		.amdhsa_exception_fp_ieee_overflow 0
		.amdhsa_exception_fp_ieee_underflow 0
		.amdhsa_exception_fp_ieee_inexact 0
		.amdhsa_exception_int_div_zero 0
	.end_amdhsa_kernel
	.section	.text._ZN9rocsparseL37csrgeam_fill_numeric_multipass_kernelILj256ELj32ElidEEvllNS_24const_host_device_scalarIT3_EEPKT1_PKT2_PKS2_S3_S6_S9_SB_S6_PS2_21rocsparse_index_base_SD_SD_bbb,"axG",@progbits,_ZN9rocsparseL37csrgeam_fill_numeric_multipass_kernelILj256ELj32ElidEEvllNS_24const_host_device_scalarIT3_EEPKT1_PKT2_PKS2_S3_S6_S9_SB_S6_PS2_21rocsparse_index_base_SD_SD_bbb,comdat
.Lfunc_end8:
	.size	_ZN9rocsparseL37csrgeam_fill_numeric_multipass_kernelILj256ELj32ElidEEvllNS_24const_host_device_scalarIT3_EEPKT1_PKT2_PKS2_S3_S6_S9_SB_S6_PS2_21rocsparse_index_base_SD_SD_bbb, .Lfunc_end8-_ZN9rocsparseL37csrgeam_fill_numeric_multipass_kernelILj256ELj32ElidEEvllNS_24const_host_device_scalarIT3_EEPKT1_PKT2_PKS2_S3_S6_S9_SB_S6_PS2_21rocsparse_index_base_SD_SD_bbb
                                        ; -- End function
	.set _ZN9rocsparseL37csrgeam_fill_numeric_multipass_kernelILj256ELj32ElidEEvllNS_24const_host_device_scalarIT3_EEPKT1_PKT2_PKS2_S3_S6_S9_SB_S6_PS2_21rocsparse_index_base_SD_SD_bbb.num_vgpr, 41
	.set _ZN9rocsparseL37csrgeam_fill_numeric_multipass_kernelILj256ELj32ElidEEvllNS_24const_host_device_scalarIT3_EEPKT1_PKT2_PKS2_S3_S6_S9_SB_S6_PS2_21rocsparse_index_base_SD_SD_bbb.num_agpr, 0
	.set _ZN9rocsparseL37csrgeam_fill_numeric_multipass_kernelILj256ELj32ElidEEvllNS_24const_host_device_scalarIT3_EEPKT1_PKT2_PKS2_S3_S6_S9_SB_S6_PS2_21rocsparse_index_base_SD_SD_bbb.numbered_sgpr, 22
	.set _ZN9rocsparseL37csrgeam_fill_numeric_multipass_kernelILj256ELj32ElidEEvllNS_24const_host_device_scalarIT3_EEPKT1_PKT2_PKS2_S3_S6_S9_SB_S6_PS2_21rocsparse_index_base_SD_SD_bbb.num_named_barrier, 0
	.set _ZN9rocsparseL37csrgeam_fill_numeric_multipass_kernelILj256ELj32ElidEEvllNS_24const_host_device_scalarIT3_EEPKT1_PKT2_PKS2_S3_S6_S9_SB_S6_PS2_21rocsparse_index_base_SD_SD_bbb.private_seg_size, 0
	.set _ZN9rocsparseL37csrgeam_fill_numeric_multipass_kernelILj256ELj32ElidEEvllNS_24const_host_device_scalarIT3_EEPKT1_PKT2_PKS2_S3_S6_S9_SB_S6_PS2_21rocsparse_index_base_SD_SD_bbb.uses_vcc, 1
	.set _ZN9rocsparseL37csrgeam_fill_numeric_multipass_kernelILj256ELj32ElidEEvllNS_24const_host_device_scalarIT3_EEPKT1_PKT2_PKS2_S3_S6_S9_SB_S6_PS2_21rocsparse_index_base_SD_SD_bbb.uses_flat_scratch, 0
	.set _ZN9rocsparseL37csrgeam_fill_numeric_multipass_kernelILj256ELj32ElidEEvllNS_24const_host_device_scalarIT3_EEPKT1_PKT2_PKS2_S3_S6_S9_SB_S6_PS2_21rocsparse_index_base_SD_SD_bbb.has_dyn_sized_stack, 0
	.set _ZN9rocsparseL37csrgeam_fill_numeric_multipass_kernelILj256ELj32ElidEEvllNS_24const_host_device_scalarIT3_EEPKT1_PKT2_PKS2_S3_S6_S9_SB_S6_PS2_21rocsparse_index_base_SD_SD_bbb.has_recursion, 0
	.set _ZN9rocsparseL37csrgeam_fill_numeric_multipass_kernelILj256ELj32ElidEEvllNS_24const_host_device_scalarIT3_EEPKT1_PKT2_PKS2_S3_S6_S9_SB_S6_PS2_21rocsparse_index_base_SD_SD_bbb.has_indirect_call, 0
	.section	.AMDGPU.csdata,"",@progbits
; Kernel info:
; codeLenInByte = 1692
; TotalNumSgprs: 24
; NumVgprs: 41
; ScratchSize: 0
; MemoryBound: 0
; FloatMode: 240
; IeeeMode: 1
; LDSByteSize: 2304 bytes/workgroup (compile time only)
; SGPRBlocks: 0
; VGPRBlocks: 2
; NumSGPRsForWavesPerEU: 24
; NumVGPRsForWavesPerEU: 41
; NamedBarCnt: 0
; Occupancy: 16
; WaveLimiterHint : 1
; COMPUTE_PGM_RSRC2:SCRATCH_EN: 0
; COMPUTE_PGM_RSRC2:USER_SGPR: 2
; COMPUTE_PGM_RSRC2:TRAP_HANDLER: 0
; COMPUTE_PGM_RSRC2:TGID_X_EN: 1
; COMPUTE_PGM_RSRC2:TGID_Y_EN: 0
; COMPUTE_PGM_RSRC2:TGID_Z_EN: 0
; COMPUTE_PGM_RSRC2:TIDIG_COMP_CNT: 0
	.section	.text._ZN9rocsparseL37csrgeam_fill_numeric_multipass_kernelILj256ELj64ElidEEvllNS_24const_host_device_scalarIT3_EEPKT1_PKT2_PKS2_S3_S6_S9_SB_S6_PS2_21rocsparse_index_base_SD_SD_bbb,"axG",@progbits,_ZN9rocsparseL37csrgeam_fill_numeric_multipass_kernelILj256ELj64ElidEEvllNS_24const_host_device_scalarIT3_EEPKT1_PKT2_PKS2_S3_S6_S9_SB_S6_PS2_21rocsparse_index_base_SD_SD_bbb,comdat
	.globl	_ZN9rocsparseL37csrgeam_fill_numeric_multipass_kernelILj256ELj64ElidEEvllNS_24const_host_device_scalarIT3_EEPKT1_PKT2_PKS2_S3_S6_S9_SB_S6_PS2_21rocsparse_index_base_SD_SD_bbb ; -- Begin function _ZN9rocsparseL37csrgeam_fill_numeric_multipass_kernelILj256ELj64ElidEEvllNS_24const_host_device_scalarIT3_EEPKT1_PKT2_PKS2_S3_S6_S9_SB_S6_PS2_21rocsparse_index_base_SD_SD_bbb
	.p2align	8
	.type	_ZN9rocsparseL37csrgeam_fill_numeric_multipass_kernelILj256ELj64ElidEEvllNS_24const_host_device_scalarIT3_EEPKT1_PKT2_PKS2_S3_S6_S9_SB_S6_PS2_21rocsparse_index_base_SD_SD_bbb,@function
_ZN9rocsparseL37csrgeam_fill_numeric_multipass_kernelILj256ELj64ElidEEvllNS_24const_host_device_scalarIT3_EEPKT1_PKT2_PKS2_S3_S6_S9_SB_S6_PS2_21rocsparse_index_base_SD_SD_bbb: ; @_ZN9rocsparseL37csrgeam_fill_numeric_multipass_kernelILj256ELj64ElidEEvllNS_24const_host_device_scalarIT3_EEPKT1_PKT2_PKS2_S3_S6_S9_SB_S6_PS2_21rocsparse_index_base_SD_SD_bbb
; %bb.0:
	s_clause 0x4
	s_load_b128 s[4:7], s[0:1], 0x60
	s_load_b32 s14, s[0:1], 0x6c
	s_load_b64 s[12:13], s[0:1], 0x10
	s_load_b64 s[2:3], s[0:1], 0x30
	s_load_b128 s[8:11], s[0:1], 0x0
	s_wait_kmcnt 0x0
	s_bitcmp1_b32 s7, 0
	s_cselect_b32 s15, -1, 0
	s_bitcmp1_b32 s14, 16
	s_cselect_b32 s7, -1, 0
	s_xor_b32 s16, s15, -1
	s_delay_alu instid0(SALU_CYCLE_1)
	s_or_b32 s18, s7, s16
	s_and_b32 s15, s15, exec_lo
	s_cselect_b32 s17, s13, 0
	s_cselect_b32 s16, s12, 0
	s_and_b32 vcc_lo, exec_lo, s18
	v_mov_b64_e32 v[10:11], s[16:17]
	s_cbranch_vccnz .LBB9_2
; %bb.1:
	v_mov_b32_e32 v1, 0
	flat_load_b64 v[10:11], v1, s[12:13]
.LBB9_2:
	s_bitcmp1_b32 s14, 8
	s_wait_xcnt 0x0
	s_cselect_b32 s12, -1, 0
	s_delay_alu instid0(SALU_CYCLE_1) | instskip(NEXT) | instid1(SALU_CYCLE_1)
	s_xor_b32 s13, s12, -1
	s_or_b32 s7, s7, s13
	s_and_b32 s12, s12, exec_lo
	s_cselect_b32 s13, s3, 0
	s_cselect_b32 s12, s2, 0
	s_and_b32 vcc_lo, exec_lo, s7
	v_mov_b64_e32 v[12:13], s[12:13]
	s_cbranch_vccnz .LBB9_4
; %bb.3:
	v_mov_b32_e32 v1, 0
	flat_load_b64 v[12:13], v1, s[2:3]
.LBB9_4:
	s_wait_xcnt 0x0
	s_bfe_u32 s2, ttmp6, 0x4000c
	s_and_b32 s3, ttmp6, 15
	s_add_co_i32 s2, s2, 1
	s_getreg_b32 s7, hwreg(HW_REG_IB_STS2, 6, 4)
	s_mul_i32 s2, ttmp9, s2
	v_dual_lshrrev_b32 v1, 6, v0 :: v_dual_mov_b32 v17, 0
	s_add_co_i32 s3, s3, s2
	s_cmp_eq_u32 s7, 0
	s_mov_b32 s19, 0
	s_cselect_b32 s2, ttmp9, s3
	s_delay_alu instid0(SALU_CYCLE_1) | instskip(NEXT) | instid1(SALU_CYCLE_1)
	s_lshl_b32 s2, s2, 2
	v_and_or_b32 v16, 0x3fffffc, s2, v1
	s_mov_b32 s2, exec_lo
	s_delay_alu instid0(VALU_DEP_1)
	v_cmpx_gt_i64_e64 s[8:9], v[16:17]
	s_cbranch_execz .LBB9_35
; %bb.5:
	s_clause 0x2
	s_load_b64 s[2:3], s[0:1], 0x18
	s_load_b64 s[8:9], s[0:1], 0x38
	s_load_b64 s[12:13], s[0:1], 0x50
	v_lshlrev_b32_e32 v1, 3, v16
	s_mov_b32 s18, s4
	s_wait_kmcnt 0x0
	s_clause 0x1
	global_load_b128 v[6:9], v1, s[2:3]
	global_load_b128 v[2:5], v1, s[8:9]
	global_load_b64 v[14:15], v16, s[12:13] scale_offset
	s_wait_xcnt 0x2
	s_mov_b32 s2, exec_lo
	s_wait_loadcnt 0x2
	s_wait_xcnt 0x0
	v_cmpx_ge_i64_e64 v[6:7], v[8:9]
	s_xor_b32 s2, exec_lo, s2
	s_delay_alu instid0(SALU_CYCLE_1)
	s_or_saveexec_b32 s7, s2
	s_load_b64 s[2:3], s[0:1], 0x20
	v_sub_nc_u64_e64 v[16:17], v[6:7], s[18:19]
	v_mov_b32_e32 v1, s10
	s_xor_b32 exec_lo, exec_lo, s7
	s_cbranch_execz .LBB9_7
; %bb.6:
	s_wait_kmcnt 0x0
	s_delay_alu instid0(VALU_DEP_2)
	v_lshl_add_u64 v[6:7], v[16:17], 2, s[2:3]
	global_load_b32 v1, v[6:7], off
	s_wait_loadcnt 0x0
	v_subrev_nc_u32_e32 v1, s4, v1
.LBB9_7:
	s_or_b32 exec_lo, exec_lo, s7
	v_mov_b32_e32 v26, s10
	s_mov_b32 s21, 0
	s_mov_b32 s20, s5
	s_mov_b32 s7, exec_lo
	s_wait_loadcnt 0x1
	v_cmpx_ge_i64_e64 v[2:3], v[4:5]
	s_xor_b32 s7, exec_lo, s7
; %bb.8:
	v_mov_b32_e32 v26, s10
; %bb.9:
	s_or_saveexec_b32 s7, s7
	s_load_b64 s[8:9], s[0:1], 0x40
	v_sub_nc_u64_e64 v[18:19], v[2:3], s[20:21]
	s_delay_alu instid0(VALU_DEP_2)
	v_mov_b32_e32 v20, v26
	s_xor_b32 exec_lo, exec_lo, s7
	s_cbranch_execz .LBB9_11
; %bb.10:
	s_wait_kmcnt 0x0
	s_delay_alu instid0(VALU_DEP_2)
	v_lshl_add_u64 v[2:3], v[18:19], 2, s[8:9]
	global_load_b32 v2, v[2:3], off
	s_wait_loadcnt 0x0
	v_subrev_nc_u32_e32 v20, s5, v2
.LBB9_11:
	s_or_b32 exec_lo, exec_lo, s7
	v_mbcnt_lo_u32_b32 v21, -1, 0
	v_and_b32_e32 v2, 0xc0, v0
	v_mov_b32_e32 v7, 0
	s_mov_b32 s7, 0
	s_clause 0x2
	s_load_b64 s[12:13], s[0:1], 0x58
	s_load_b64 s[14:15], s[0:1], 0x48
	;; [unrolled: 1-line block ×3, first 2 shown]
	v_dual_lshlrev_b32 v28, 3, v2 :: v_dual_bitop2_b32 v22, 32, v21 bitop3:0x54
	v_and_b32_e32 v6, 63, v0
	v_or_b32_e32 v27, 0x800, v2
	v_sub_nc_u64_e64 v[2:3], v[8:9], s[18:19]
	s_delay_alu instid0(VALU_DEP_4)
	v_cmp_gt_i32_e32 vcc_lo, 32, v22
	s_wait_loadcnt 0x0
	v_sub_nc_u64_e64 v[8:9], v[14:15], s[6:7]
	v_add_nc_u64_e32 v[14:15], v[16:17], v[6:7]
	v_bitop3_b32 v16, v0, 63, v0 bitop3:0xc
	v_dual_cndmask_b32 v22, v21, v22, vcc_lo :: v_dual_min_i32 v20, v20, v1
	v_add_nc_u64_e32 v[0:1], v[18:19], v[6:7]
	v_xor_b32_e32 v18, 16, v21
	s_delay_alu instid0(VALU_DEP_4)
	v_lshrrev_b64 v[16:17], v16, -1
	v_sub_nc_u64_e64 v[4:5], v[4:5], s[20:21]
	v_lshlrev_b32_e32 v17, 2, v22
	v_lshl_or_b32 v29, v6, 3, v28
	v_cmp_gt_i32_e32 vcc_lo, 32, v18
	v_dual_add_nc_u32 v35, v27, v6 :: v_dual_bitop2_b32 v19, 8, v21 bitop3:0x14
	v_mov_b32_e32 v36, 1
	s_wait_xcnt 0x0
	s_mov_b32 s1, 0
	v_cndmask_b32_e32 v18, v21, v18, vcc_lo
	v_cmp_gt_i32_e32 vcc_lo, 32, v19
	s_delay_alu instid0(VALU_DEP_2) | instskip(SKIP_1) | instid1(VALU_DEP_2)
	v_dual_lshlrev_b32 v30, 2, v18 :: v_dual_bitop2_b32 v22, 4, v21 bitop3:0x14
	v_cndmask_b32_e32 v19, v21, v19, vcc_lo
	v_cmp_gt_i32_e32 vcc_lo, 32, v22
	v_dual_cndmask_b32 v22, v21, v22, vcc_lo :: v_dual_bitop2_b32 v23, 2, v21 bitop3:0x14
	s_delay_alu instid0(VALU_DEP_1) | instskip(NEXT) | instid1(VALU_DEP_4)
	v_cmp_gt_i32_e32 vcc_lo, 32, v23
	v_dual_lshlrev_b32 v31, 2, v19 :: v_dual_bitop2_b32 v24, 1, v21 bitop3:0x14
	v_mov_b64_e32 v[18:19], 0
	s_delay_alu instid0(VALU_DEP_4) | instskip(NEXT) | instid1(VALU_DEP_3)
	v_dual_cndmask_b32 v23, v21, v23 :: v_dual_lshlrev_b32 v32, 2, v22
	v_cmp_gt_i32_e32 vcc_lo, 32, v24
	s_delay_alu instid0(VALU_DEP_2) | instskip(NEXT) | instid1(VALU_DEP_1)
	v_dual_cndmask_b32 v21, v21, v24, vcc_lo :: v_dual_lshlrev_b32 v33, 2, v23
	v_lshlrev_b32_e32 v34, 2, v21
	s_branch .LBB9_13
.LBB9_12:                               ;   in Loop: Header=BB9_13 Depth=1
	s_wait_xcnt 0x0
	s_or_b32 exec_lo, exec_lo, s6
	ds_bpermute_b32 v6, v17, v21
	s_bcnt1_i32_b32 s6, vcc_lo
	s_delay_alu instid0(SALU_CYCLE_1)
	v_add_nc_u64_e32 v[8:9], s[6:7], v[8:9]
	s_wait_dscnt 0x0
	v_min_i32_e32 v6, v6, v21
	ds_bpermute_b32 v20, v30, v6
	s_wait_dscnt 0x0
	v_min_i32_e32 v6, v20, v6
	ds_bpermute_b32 v20, v31, v6
	;; [unrolled: 3-line block ×5, first 2 shown]
	s_wait_dscnt 0x0
	v_min_i32_e32 v20, v20, v6
	s_delay_alu instid0(VALU_DEP_1) | instskip(NEXT) | instid1(VALU_DEP_1)
	v_ashrrev_i32_e32 v21, 31, v20
	v_cmp_le_i64_e64 s0, s[10:11], v[20:21]
	s_or_b32 s1, s0, s1
	s_delay_alu instid0(SALU_CYCLE_1)
	s_and_not1_b32 exec_lo, exec_lo, s1
	s_cbranch_execz .LBB9_35
.LBB9_13:                               ; =>This Loop Header: Depth=1
                                        ;     Child Loop BB9_16 Depth 2
                                        ;     Child Loop BB9_26 Depth 2
	v_mov_b32_e32 v21, v26
	s_mov_b32 s6, exec_lo
	ds_store_b8 v35, v7
	ds_store_b64 v29, v[18:19]
	s_wait_dscnt 0x0
	v_cmpx_lt_i64_e64 v[14:15], v[2:3]
	s_cbranch_execz .LBB9_23
; %bb.14:                               ;   in Loop: Header=BB9_13 Depth=1
	s_wait_kmcnt 0x0
	v_lshl_add_u64 v[22:23], v[14:15], 2, s[2:3]
	v_lshl_add_u64 v[24:25], v[14:15], 3, s[16:17]
	v_mov_b32_e32 v21, v26
	s_mov_b32 s18, 0
	s_branch .LBB9_16
.LBB9_15:                               ;   in Loop: Header=BB9_16 Depth=2
	s_or_b32 exec_lo, exec_lo, s19
	s_delay_alu instid0(SALU_CYCLE_1) | instskip(NEXT) | instid1(SALU_CYCLE_1)
	s_and_b32 s0, exec_lo, s0
	s_or_b32 s18, s0, s18
	s_delay_alu instid0(SALU_CYCLE_1)
	s_and_not1_b32 exec_lo, exec_lo, s18
	s_cbranch_execz .LBB9_22
.LBB9_16:                               ;   Parent Loop BB9_13 Depth=1
                                        ; =>  This Inner Loop Header: Depth=2
	global_load_b32 v6, v[22:23], off
	s_wait_loadcnt 0x0
	v_subrev_nc_u32_e32 v37, s4, v6
	s_delay_alu instid0(VALU_DEP_1) | instskip(NEXT) | instid1(VALU_DEP_1)
	v_sub_nc_u32_e32 v6, v37, v20
	v_cmp_lt_u32_e64 s0, 63, v6
	v_cmp_gt_u32_e32 vcc_lo, 64, v6
	s_wait_xcnt 0x0
	s_and_saveexec_b32 s19, s0
	s_delay_alu instid0(SALU_CYCLE_1)
	s_xor_b32 s0, exec_lo, s19
	s_cbranch_execnz .LBB9_19
; %bb.17:                               ;   in Loop: Header=BB9_16 Depth=2
	s_and_not1_saveexec_b32 s0, s0
	s_cbranch_execnz .LBB9_20
.LBB9_18:                               ;   in Loop: Header=BB9_16 Depth=2
	s_or_b32 exec_lo, exec_lo, s0
	s_mov_b32 s0, -1
	s_and_saveexec_b32 s19, vcc_lo
	s_cbranch_execz .LBB9_15
	s_branch .LBB9_21
.LBB9_19:                               ;   in Loop: Header=BB9_16 Depth=2
	v_min_i32_e32 v21, v37, v21
                                        ; implicit-def: $vgpr6
	s_and_not1_saveexec_b32 s0, s0
	s_cbranch_execz .LBB9_18
.LBB9_20:                               ;   in Loop: Header=BB9_16 Depth=2
	global_load_b64 v[38:39], v[24:25], off
	v_add_nc_u32_e32 v37, v27, v6
	v_lshl_add_u32 v6, v6, 3, v28
	s_wait_loadcnt 0x0
	v_mul_f64_e32 v[38:39], v[10:11], v[38:39]
	ds_store_b8 v37, v36
	ds_store_b64 v6, v[38:39]
	s_wait_xcnt 0x0
	s_or_b32 exec_lo, exec_lo, s0
	s_mov_b32 s0, -1
	s_and_saveexec_b32 s19, vcc_lo
	s_cbranch_execz .LBB9_15
.LBB9_21:                               ;   in Loop: Header=BB9_16 Depth=2
	v_add_nc_u64_e32 v[14:15], 64, v[14:15]
	v_add_nc_u64_e32 v[22:23], 0x100, v[22:23]
	;; [unrolled: 1-line block ×3, first 2 shown]
	s_delay_alu instid0(VALU_DEP_3)
	v_cmp_ge_i64_e32 vcc_lo, v[14:15], v[2:3]
	s_or_not1_b32 s0, vcc_lo, exec_lo
	s_branch .LBB9_15
.LBB9_22:                               ;   in Loop: Header=BB9_13 Depth=1
	s_or_b32 exec_lo, exec_lo, s18
.LBB9_23:                               ;   in Loop: Header=BB9_13 Depth=1
	s_delay_alu instid0(SALU_CYCLE_1) | instskip(NEXT) | instid1(SALU_CYCLE_1)
	s_or_b32 exec_lo, exec_lo, s6
	s_mov_b32 s6, exec_lo
	s_wait_dscnt 0x0
	v_cmpx_lt_i64_e64 v[0:1], v[4:5]
	s_cbranch_execz .LBB9_33
; %bb.24:                               ;   in Loop: Header=BB9_13 Depth=1
	s_wait_kmcnt 0x0
	v_lshl_add_u64 v[22:23], v[0:1], 2, s[8:9]
	v_lshl_add_u64 v[24:25], v[0:1], 3, s[14:15]
	s_mov_b32 s18, 0
	s_branch .LBB9_26
.LBB9_25:                               ;   in Loop: Header=BB9_26 Depth=2
	s_or_b32 exec_lo, exec_lo, s19
	s_delay_alu instid0(SALU_CYCLE_1) | instskip(NEXT) | instid1(SALU_CYCLE_1)
	s_and_b32 s0, exec_lo, s0
	s_or_b32 s18, s0, s18
	s_delay_alu instid0(SALU_CYCLE_1)
	s_and_not1_b32 exec_lo, exec_lo, s18
	s_cbranch_execz .LBB9_32
.LBB9_26:                               ;   Parent Loop BB9_13 Depth=1
                                        ; =>  This Inner Loop Header: Depth=2
	global_load_b32 v6, v[22:23], off
	s_wait_loadcnt 0x0
	v_subrev_nc_u32_e32 v37, s5, v6
	s_delay_alu instid0(VALU_DEP_1) | instskip(NEXT) | instid1(VALU_DEP_1)
	v_sub_nc_u32_e32 v6, v37, v20
	v_cmp_lt_u32_e64 s0, 63, v6
	v_cmp_gt_u32_e32 vcc_lo, 64, v6
	s_wait_xcnt 0x0
	s_and_saveexec_b32 s19, s0
	s_delay_alu instid0(SALU_CYCLE_1)
	s_xor_b32 s0, exec_lo, s19
	s_cbranch_execnz .LBB9_29
; %bb.27:                               ;   in Loop: Header=BB9_26 Depth=2
	s_and_not1_saveexec_b32 s0, s0
	s_cbranch_execnz .LBB9_30
.LBB9_28:                               ;   in Loop: Header=BB9_26 Depth=2
	s_or_b32 exec_lo, exec_lo, s0
	s_mov_b32 s0, -1
	s_and_saveexec_b32 s19, vcc_lo
	s_cbranch_execz .LBB9_25
	s_branch .LBB9_31
.LBB9_29:                               ;   in Loop: Header=BB9_26 Depth=2
	v_min_i32_e32 v21, v37, v21
                                        ; implicit-def: $vgpr6
	s_and_not1_saveexec_b32 s0, s0
	s_cbranch_execz .LBB9_28
.LBB9_30:                               ;   in Loop: Header=BB9_26 Depth=2
	global_load_b64 v[38:39], v[24:25], off
	v_lshl_add_u32 v37, v6, 3, v28
	v_add_nc_u32_e32 v6, v27, v6
	ds_load_b64 v[40:41], v37
	s_wait_loadcnt_dscnt 0x0
	v_fmac_f64_e32 v[40:41], v[12:13], v[38:39]
	ds_store_b8 v6, v36
	ds_store_b64 v37, v[40:41]
	s_wait_xcnt 0x0
	s_or_b32 exec_lo, exec_lo, s0
	s_mov_b32 s0, -1
	s_and_saveexec_b32 s19, vcc_lo
	s_cbranch_execz .LBB9_25
.LBB9_31:                               ;   in Loop: Header=BB9_26 Depth=2
	v_add_nc_u64_e32 v[0:1], 64, v[0:1]
	v_add_nc_u64_e32 v[22:23], 0x100, v[22:23]
	;; [unrolled: 1-line block ×3, first 2 shown]
	s_delay_alu instid0(VALU_DEP_3)
	v_cmp_ge_i64_e32 vcc_lo, v[0:1], v[4:5]
	s_or_not1_b32 s0, vcc_lo, exec_lo
	s_branch .LBB9_25
.LBB9_32:                               ;   in Loop: Header=BB9_13 Depth=1
	s_or_b32 exec_lo, exec_lo, s18
.LBB9_33:                               ;   in Loop: Header=BB9_13 Depth=1
	s_delay_alu instid0(SALU_CYCLE_1)
	s_or_b32 exec_lo, exec_lo, s6
	s_wait_dscnt 0x0
	ds_load_u8 v6, v35
	s_mov_b32 s6, exec_lo
	s_wait_dscnt 0x0
	v_and_b32_e32 v20, 1, v6
	v_cmp_ne_u16_e32 vcc_lo, 0, v6
	s_delay_alu instid0(VALU_DEP_2)
	v_cmpx_eq_u32_e32 1, v20
	s_cbranch_execz .LBB9_12
; %bb.34:                               ;   in Loop: Header=BB9_13 Depth=1
	v_and_b32_e32 v6, vcc_lo, v16
	ds_load_b64 v[22:23], v29
	s_wait_kmcnt 0x0
	v_lshl_add_u64 v[24:25], v[8:9], 3, s[12:13]
	v_bcnt_u32_b32 v6, v6, 0
	s_delay_alu instid0(VALU_DEP_1) | instskip(NEXT) | instid1(VALU_DEP_1)
	v_lshlrev_b32_e32 v6, 3, v6
	v_add_nc_u64_e32 v[24:25], v[24:25], v[6:7]
	s_wait_dscnt 0x0
	global_store_b64 v[24:25], v[22:23], off offset:-8
	s_branch .LBB9_12
.LBB9_35:
	s_endpgm
	.section	.rodata,"a",@progbits
	.p2align	6, 0x0
	.amdhsa_kernel _ZN9rocsparseL37csrgeam_fill_numeric_multipass_kernelILj256ELj64ElidEEvllNS_24const_host_device_scalarIT3_EEPKT1_PKT2_PKS2_S3_S6_S9_SB_S6_PS2_21rocsparse_index_base_SD_SD_bbb
		.amdhsa_group_segment_fixed_size 2304
		.amdhsa_private_segment_fixed_size 0
		.amdhsa_kernarg_size 112
		.amdhsa_user_sgpr_count 2
		.amdhsa_user_sgpr_dispatch_ptr 0
		.amdhsa_user_sgpr_queue_ptr 0
		.amdhsa_user_sgpr_kernarg_segment_ptr 1
		.amdhsa_user_sgpr_dispatch_id 0
		.amdhsa_user_sgpr_kernarg_preload_length 0
		.amdhsa_user_sgpr_kernarg_preload_offset 0
		.amdhsa_user_sgpr_private_segment_size 0
		.amdhsa_wavefront_size32 1
		.amdhsa_uses_dynamic_stack 0
		.amdhsa_enable_private_segment 0
		.amdhsa_system_sgpr_workgroup_id_x 1
		.amdhsa_system_sgpr_workgroup_id_y 0
		.amdhsa_system_sgpr_workgroup_id_z 0
		.amdhsa_system_sgpr_workgroup_info 0
		.amdhsa_system_vgpr_workitem_id 0
		.amdhsa_next_free_vgpr 42
		.amdhsa_next_free_sgpr 22
		.amdhsa_named_barrier_count 0
		.amdhsa_reserve_vcc 1
		.amdhsa_float_round_mode_32 0
		.amdhsa_float_round_mode_16_64 0
		.amdhsa_float_denorm_mode_32 3
		.amdhsa_float_denorm_mode_16_64 3
		.amdhsa_fp16_overflow 0
		.amdhsa_memory_ordered 1
		.amdhsa_forward_progress 1
		.amdhsa_inst_pref_size 14
		.amdhsa_round_robin_scheduling 0
		.amdhsa_exception_fp_ieee_invalid_op 0
		.amdhsa_exception_fp_denorm_src 0
		.amdhsa_exception_fp_ieee_div_zero 0
		.amdhsa_exception_fp_ieee_overflow 0
		.amdhsa_exception_fp_ieee_underflow 0
		.amdhsa_exception_fp_ieee_inexact 0
		.amdhsa_exception_int_div_zero 0
	.end_amdhsa_kernel
	.section	.text._ZN9rocsparseL37csrgeam_fill_numeric_multipass_kernelILj256ELj64ElidEEvllNS_24const_host_device_scalarIT3_EEPKT1_PKT2_PKS2_S3_S6_S9_SB_S6_PS2_21rocsparse_index_base_SD_SD_bbb,"axG",@progbits,_ZN9rocsparseL37csrgeam_fill_numeric_multipass_kernelILj256ELj64ElidEEvllNS_24const_host_device_scalarIT3_EEPKT1_PKT2_PKS2_S3_S6_S9_SB_S6_PS2_21rocsparse_index_base_SD_SD_bbb,comdat
.Lfunc_end9:
	.size	_ZN9rocsparseL37csrgeam_fill_numeric_multipass_kernelILj256ELj64ElidEEvllNS_24const_host_device_scalarIT3_EEPKT1_PKT2_PKS2_S3_S6_S9_SB_S6_PS2_21rocsparse_index_base_SD_SD_bbb, .Lfunc_end9-_ZN9rocsparseL37csrgeam_fill_numeric_multipass_kernelILj256ELj64ElidEEvllNS_24const_host_device_scalarIT3_EEPKT1_PKT2_PKS2_S3_S6_S9_SB_S6_PS2_21rocsparse_index_base_SD_SD_bbb
                                        ; -- End function
	.set _ZN9rocsparseL37csrgeam_fill_numeric_multipass_kernelILj256ELj64ElidEEvllNS_24const_host_device_scalarIT3_EEPKT1_PKT2_PKS2_S3_S6_S9_SB_S6_PS2_21rocsparse_index_base_SD_SD_bbb.num_vgpr, 42
	.set _ZN9rocsparseL37csrgeam_fill_numeric_multipass_kernelILj256ELj64ElidEEvllNS_24const_host_device_scalarIT3_EEPKT1_PKT2_PKS2_S3_S6_S9_SB_S6_PS2_21rocsparse_index_base_SD_SD_bbb.num_agpr, 0
	.set _ZN9rocsparseL37csrgeam_fill_numeric_multipass_kernelILj256ELj64ElidEEvllNS_24const_host_device_scalarIT3_EEPKT1_PKT2_PKS2_S3_S6_S9_SB_S6_PS2_21rocsparse_index_base_SD_SD_bbb.numbered_sgpr, 22
	.set _ZN9rocsparseL37csrgeam_fill_numeric_multipass_kernelILj256ELj64ElidEEvllNS_24const_host_device_scalarIT3_EEPKT1_PKT2_PKS2_S3_S6_S9_SB_S6_PS2_21rocsparse_index_base_SD_SD_bbb.num_named_barrier, 0
	.set _ZN9rocsparseL37csrgeam_fill_numeric_multipass_kernelILj256ELj64ElidEEvllNS_24const_host_device_scalarIT3_EEPKT1_PKT2_PKS2_S3_S6_S9_SB_S6_PS2_21rocsparse_index_base_SD_SD_bbb.private_seg_size, 0
	.set _ZN9rocsparseL37csrgeam_fill_numeric_multipass_kernelILj256ELj64ElidEEvllNS_24const_host_device_scalarIT3_EEPKT1_PKT2_PKS2_S3_S6_S9_SB_S6_PS2_21rocsparse_index_base_SD_SD_bbb.uses_vcc, 1
	.set _ZN9rocsparseL37csrgeam_fill_numeric_multipass_kernelILj256ELj64ElidEEvllNS_24const_host_device_scalarIT3_EEPKT1_PKT2_PKS2_S3_S6_S9_SB_S6_PS2_21rocsparse_index_base_SD_SD_bbb.uses_flat_scratch, 0
	.set _ZN9rocsparseL37csrgeam_fill_numeric_multipass_kernelILj256ELj64ElidEEvllNS_24const_host_device_scalarIT3_EEPKT1_PKT2_PKS2_S3_S6_S9_SB_S6_PS2_21rocsparse_index_base_SD_SD_bbb.has_dyn_sized_stack, 0
	.set _ZN9rocsparseL37csrgeam_fill_numeric_multipass_kernelILj256ELj64ElidEEvllNS_24const_host_device_scalarIT3_EEPKT1_PKT2_PKS2_S3_S6_S9_SB_S6_PS2_21rocsparse_index_base_SD_SD_bbb.has_recursion, 0
	.set _ZN9rocsparseL37csrgeam_fill_numeric_multipass_kernelILj256ELj64ElidEEvllNS_24const_host_device_scalarIT3_EEPKT1_PKT2_PKS2_S3_S6_S9_SB_S6_PS2_21rocsparse_index_base_SD_SD_bbb.has_indirect_call, 0
	.section	.AMDGPU.csdata,"",@progbits
; Kernel info:
; codeLenInByte = 1748
; TotalNumSgprs: 24
; NumVgprs: 42
; ScratchSize: 0
; MemoryBound: 0
; FloatMode: 240
; IeeeMode: 1
; LDSByteSize: 2304 bytes/workgroup (compile time only)
; SGPRBlocks: 0
; VGPRBlocks: 2
; NumSGPRsForWavesPerEU: 24
; NumVGPRsForWavesPerEU: 42
; NamedBarCnt: 0
; Occupancy: 16
; WaveLimiterHint : 1
; COMPUTE_PGM_RSRC2:SCRATCH_EN: 0
; COMPUTE_PGM_RSRC2:USER_SGPR: 2
; COMPUTE_PGM_RSRC2:TRAP_HANDLER: 0
; COMPUTE_PGM_RSRC2:TGID_X_EN: 1
; COMPUTE_PGM_RSRC2:TGID_Y_EN: 0
; COMPUTE_PGM_RSRC2:TGID_Z_EN: 0
; COMPUTE_PGM_RSRC2:TIDIG_COMP_CNT: 0
	.section	.text._ZN9rocsparseL37csrgeam_fill_numeric_multipass_kernelILj256ELj32ElldEEvllNS_24const_host_device_scalarIT3_EEPKT1_PKT2_PKS2_S3_S6_S9_SB_S6_PS2_21rocsparse_index_base_SD_SD_bbb,"axG",@progbits,_ZN9rocsparseL37csrgeam_fill_numeric_multipass_kernelILj256ELj32ElldEEvllNS_24const_host_device_scalarIT3_EEPKT1_PKT2_PKS2_S3_S6_S9_SB_S6_PS2_21rocsparse_index_base_SD_SD_bbb,comdat
	.globl	_ZN9rocsparseL37csrgeam_fill_numeric_multipass_kernelILj256ELj32ElldEEvllNS_24const_host_device_scalarIT3_EEPKT1_PKT2_PKS2_S3_S6_S9_SB_S6_PS2_21rocsparse_index_base_SD_SD_bbb ; -- Begin function _ZN9rocsparseL37csrgeam_fill_numeric_multipass_kernelILj256ELj32ElldEEvllNS_24const_host_device_scalarIT3_EEPKT1_PKT2_PKS2_S3_S6_S9_SB_S6_PS2_21rocsparse_index_base_SD_SD_bbb
	.p2align	8
	.type	_ZN9rocsparseL37csrgeam_fill_numeric_multipass_kernelILj256ELj32ElldEEvllNS_24const_host_device_scalarIT3_EEPKT1_PKT2_PKS2_S3_S6_S9_SB_S6_PS2_21rocsparse_index_base_SD_SD_bbb,@function
_ZN9rocsparseL37csrgeam_fill_numeric_multipass_kernelILj256ELj32ElldEEvllNS_24const_host_device_scalarIT3_EEPKT1_PKT2_PKS2_S3_S6_S9_SB_S6_PS2_21rocsparse_index_base_SD_SD_bbb: ; @_ZN9rocsparseL37csrgeam_fill_numeric_multipass_kernelILj256ELj32ElldEEvllNS_24const_host_device_scalarIT3_EEPKT1_PKT2_PKS2_S3_S6_S9_SB_S6_PS2_21rocsparse_index_base_SD_SD_bbb
; %bb.0:
	s_clause 0x4
	s_load_b128 s[4:7], s[0:1], 0x60
	s_load_b32 s14, s[0:1], 0x6c
	s_load_b64 s[12:13], s[0:1], 0x10
	s_load_b64 s[2:3], s[0:1], 0x30
	s_load_b128 s[8:11], s[0:1], 0x0
	s_wait_kmcnt 0x0
	s_bitcmp1_b32 s7, 0
	s_cselect_b32 s15, -1, 0
	s_bitcmp1_b32 s14, 16
	s_cselect_b32 s7, -1, 0
	s_xor_b32 s16, s15, -1
	s_delay_alu instid0(SALU_CYCLE_1)
	s_or_b32 s18, s7, s16
	s_and_b32 s15, s15, exec_lo
	s_cselect_b32 s17, s13, 0
	s_cselect_b32 s16, s12, 0
	s_and_b32 vcc_lo, exec_lo, s18
	v_mov_b64_e32 v[10:11], s[16:17]
	s_cbranch_vccnz .LBB10_2
; %bb.1:
	v_mov_b32_e32 v1, 0
	flat_load_b64 v[10:11], v1, s[12:13]
.LBB10_2:
	s_bitcmp1_b32 s14, 8
	s_wait_xcnt 0x0
	s_cselect_b32 s12, -1, 0
	s_delay_alu instid0(SALU_CYCLE_1) | instskip(NEXT) | instid1(SALU_CYCLE_1)
	s_xor_b32 s13, s12, -1
	s_or_b32 s7, s7, s13
	s_and_b32 s12, s12, exec_lo
	s_cselect_b32 s13, s3, 0
	s_cselect_b32 s12, s2, 0
	s_and_b32 vcc_lo, exec_lo, s7
	v_mov_b64_e32 v[12:13], s[12:13]
	s_cbranch_vccnz .LBB10_4
; %bb.3:
	v_mov_b32_e32 v1, 0
	flat_load_b64 v[12:13], v1, s[2:3]
.LBB10_4:
	s_wait_xcnt 0x0
	s_bfe_u32 s2, ttmp6, 0x4000c
	s_and_b32 s3, ttmp6, 15
	s_add_co_i32 s2, s2, 1
	s_getreg_b32 s7, hwreg(HW_REG_IB_STS2, 6, 4)
	s_mul_i32 s2, ttmp9, s2
	v_dual_lshrrev_b32 v1, 5, v0 :: v_dual_mov_b32 v17, 0
	s_add_co_i32 s3, s3, s2
	s_cmp_eq_u32 s7, 0
	s_cselect_b32 s2, ttmp9, s3
	s_mov_b32 s3, 0
	s_lshl_b32 s2, s2, 3
	s_delay_alu instid0(SALU_CYCLE_1) | instskip(SKIP_1) | instid1(VALU_DEP_1)
	v_and_or_b32 v16, 0x7fffff8, s2, v1
	s_mov_b32 s2, exec_lo
	v_cmpx_gt_i64_e64 s[8:9], v[16:17]
	s_cbranch_execz .LBB10_33
; %bb.5:
	s_clause 0x2
	s_load_b128 s[12:15], s[0:1], 0x18
	s_load_b64 s[8:9], s[0:1], 0x38
	s_load_b64 s[16:17], s[0:1], 0x50
	v_lshlrev_b32_e32 v1, 3, v16
	s_mov_b32 s2, s4
	v_mov_b64_e32 v[18:19], s[10:11]
	s_mov_b32 s4, exec_lo
	s_wait_kmcnt 0x0
	s_clause 0x1
	global_load_b128 v[2:5], v1, s[12:13]
	global_load_b128 v[6:9], v1, s[8:9]
	global_load_b64 v[14:15], v16, s[16:17] scale_offset
	s_wait_loadcnt 0x2
	s_wait_xcnt 0x0
	v_sub_nc_u64_e64 v[16:17], v[2:3], s[2:3]
	v_cmpx_lt_i64_e64 v[2:3], v[4:5]
	s_cbranch_execz .LBB10_7
; %bb.6:
	s_delay_alu instid0(VALU_DEP_2)
	v_lshl_add_u64 v[2:3], v[16:17], 3, s[14:15]
	global_load_b64 v[2:3], v[2:3], off
	s_wait_loadcnt 0x0
	v_sub_nc_u64_e64 v[18:19], v[2:3], s[2:3]
.LBB10_7:
	s_or_b32 exec_lo, exec_lo, s4
	s_load_b64 s[8:9], s[0:1], 0x40
	s_mov_b32 s7, 0
	s_mov_b32 s4, s5
	s_mov_b32 s5, s7
	v_mov_b64_e32 v[22:23], s[10:11]
	s_wait_loadcnt 0x1
	v_sub_nc_u64_e64 v[20:21], v[6:7], s[4:5]
	s_mov_b32 s12, exec_lo
	v_cmpx_lt_i64_e64 v[6:7], v[8:9]
	s_cbranch_execz .LBB10_9
; %bb.8:
	s_wait_kmcnt 0x0
	s_delay_alu instid0(VALU_DEP_2)
	v_lshl_add_u64 v[2:3], v[20:21], 3, s[8:9]
	global_load_b64 v[2:3], v[2:3], off
	s_wait_loadcnt 0x0
	v_sub_nc_u64_e64 v[22:23], v[2:3], s[4:5]
.LBB10_9:
	s_or_b32 exec_lo, exec_lo, s12
	v_and_b32_e32 v1, 0xe0, v0
	v_mbcnt_lo_u32_b32 v24, -1, 0
	v_mov_b32_e32 v7, 0
	s_delay_alu instid0(VALU_DEP_4)
	v_min_i64 v[18:19], v[22:23], v[18:19]
	v_bitop3_b32 v22, v0, 31, v0 bitop3:0xc
	v_dual_lshlrev_b32 v31, 3, v1 :: v_dual_bitop2_b32 v6, 31, v0 bitop3:0x40
	v_or_b32_e32 v30, 0x800, v1
	v_sub_nc_u64_e64 v[2:3], v[4:5], s[2:3]
	v_sub_nc_u64_e64 v[4:5], v[8:9], s[4:5]
	s_wait_loadcnt 0x0
	v_sub_nc_u64_e64 v[8:9], v[14:15], s[6:7]
	v_add_nc_u64_e32 v[0:1], v[16:17], v[6:7]
	v_xor_b32_e32 v16, 16, v24
	v_add_nc_u64_e32 v[14:15], v[20:21], v[6:7]
	v_xor_b32_e32 v21, 2, v24
	v_xor_b32_e32 v17, 8, v24
	v_lshrrev_b32_e64 v33, v22, -1
	v_cmp_gt_i32_e32 vcc_lo, 32, v16
	v_xor_b32_e32 v22, 1, v24
	v_xor_b32_e32 v20, 4, v24
	s_clause 0x2
	s_load_b64 s[12:13], s[0:1], 0x58
	s_load_b64 s[16:17], s[0:1], 0x48
	;; [unrolled: 1-line block ×3, first 2 shown]
	v_lshl_or_b32 v32, v6, 3, v31
	v_cndmask_b32_e32 v16, v24, v16, vcc_lo
	v_cmp_gt_i32_e32 vcc_lo, 32, v17
	s_wait_xcnt 0x0
	s_mov_b32 s1, 0
	v_dual_mov_b32 v40, 1 :: v_dual_add_nc_u32 v39, v30, v6
	v_cndmask_b32_e32 v17, v24, v17, vcc_lo
	v_cmp_gt_i32_e32 vcc_lo, 32, v20
	s_delay_alu instid0(VALU_DEP_2) | instskip(SKIP_4) | instid1(VALU_DEP_1)
	v_dual_lshlrev_b32 v34, 2, v16 :: v_dual_lshlrev_b32 v35, 2, v17
	v_cndmask_b32_e32 v20, v24, v20, vcc_lo
	v_cmp_gt_i32_e32 vcc_lo, 32, v21
	v_mov_b64_e32 v[16:17], 0
	v_cndmask_b32_e32 v21, v24, v21, vcc_lo
	v_lshlrev_b32_e32 v37, 2, v21
	v_cmp_gt_i32_e32 vcc_lo, 32, v22
	v_cndmask_b32_e32 v22, v24, v22, vcc_lo
	s_delay_alu instid0(VALU_DEP_1)
	v_dual_lshlrev_b32 v38, 2, v22 :: v_dual_lshlrev_b32 v36, 2, v20
	s_branch .LBB10_11
.LBB10_10:                              ;   in Loop: Header=BB10_11 Depth=1
	s_wait_xcnt 0x0
	s_or_b32 exec_lo, exec_lo, s6
	ds_bpermute_b32 v18, v34, v20
	ds_bpermute_b32 v19, v34, v21
	s_bcnt1_i32_b32 s6, vcc_lo
	s_delay_alu instid0(SALU_CYCLE_1)
	v_add_nc_u64_e32 v[8:9], s[6:7], v[8:9]
	s_wait_dscnt 0x0
	v_min_i64 v[18:19], v[18:19], v[20:21]
	ds_bpermute_b32 v20, v35, v18
	ds_bpermute_b32 v21, v35, v19
	s_wait_dscnt 0x0
	v_min_i64 v[18:19], v[20:21], v[18:19]
	ds_bpermute_b32 v20, v36, v18
	ds_bpermute_b32 v21, v36, v19
	;; [unrolled: 4-line block ×4, first 2 shown]
	s_wait_dscnt 0x0
	v_min_i64 v[18:19], v[20:21], v[18:19]
	s_delay_alu instid0(VALU_DEP_1) | instskip(SKIP_1) | instid1(SALU_CYCLE_1)
	v_cmp_le_i64_e64 s0, s[10:11], v[18:19]
	s_or_b32 s1, s0, s1
	s_and_not1_b32 exec_lo, exec_lo, s1
	s_cbranch_execz .LBB10_33
.LBB10_11:                              ; =>This Loop Header: Depth=1
                                        ;     Child Loop BB10_14 Depth 2
                                        ;     Child Loop BB10_24 Depth 2
	v_mov_b64_e32 v[20:21], s[10:11]
	s_mov_b32 s6, exec_lo
	ds_store_b8 v39, v7
	ds_store_b64 v32, v[16:17]
	s_wait_dscnt 0x0
	v_cmpx_lt_i64_e64 v[0:1], v[2:3]
	s_cbranch_execz .LBB10_21
; %bb.12:                               ;   in Loop: Header=BB10_11 Depth=1
	v_lshlrev_b64_e32 v[20:21], 3, v[0:1]
	s_mov_b32 s20, 0
	s_delay_alu instid0(VALU_DEP_1)
	v_add_nc_u64_e32 v[22:23], s[14:15], v[20:21]
	s_wait_kmcnt 0x0
	v_add_nc_u64_e32 v[24:25], s[18:19], v[20:21]
	v_mov_b64_e32 v[20:21], s[10:11]
	s_branch .LBB10_14
.LBB10_13:                              ;   in Loop: Header=BB10_14 Depth=2
	s_or_b32 exec_lo, exec_lo, s21
	s_delay_alu instid0(SALU_CYCLE_1) | instskip(NEXT) | instid1(SALU_CYCLE_1)
	s_and_b32 s0, exec_lo, s0
	s_or_b32 s20, s0, s20
	s_delay_alu instid0(SALU_CYCLE_1)
	s_and_not1_b32 exec_lo, exec_lo, s20
	s_cbranch_execz .LBB10_20
.LBB10_14:                              ;   Parent Loop BB10_11 Depth=1
                                        ; =>  This Inner Loop Header: Depth=2
	global_load_b64 v[26:27], v[22:23], off
	s_wait_loadcnt 0x0
	v_sub_nc_u64_e64 v[28:29], v[26:27], s[2:3]
	s_delay_alu instid0(VALU_DEP_1) | instskip(NEXT) | instid1(VALU_DEP_1)
	v_sub_nc_u64_e32 v[26:27], v[28:29], v[18:19]
	v_cmp_lt_i64_e64 s0, 31, v[26:27]
	v_cmp_gt_i64_e32 vcc_lo, 32, v[26:27]
	s_wait_xcnt 0x0
	s_and_saveexec_b32 s21, s0
	s_delay_alu instid0(SALU_CYCLE_1)
	s_xor_b32 s0, exec_lo, s21
	s_cbranch_execnz .LBB10_17
; %bb.15:                               ;   in Loop: Header=BB10_14 Depth=2
	s_and_not1_saveexec_b32 s0, s0
	s_cbranch_execnz .LBB10_18
.LBB10_16:                              ;   in Loop: Header=BB10_14 Depth=2
	s_or_b32 exec_lo, exec_lo, s0
	s_mov_b32 s0, -1
	s_and_saveexec_b32 s21, vcc_lo
	s_cbranch_execz .LBB10_13
	s_branch .LBB10_19
.LBB10_17:                              ;   in Loop: Header=BB10_14 Depth=2
	v_min_i64 v[20:21], v[28:29], v[20:21]
                                        ; implicit-def: $vgpr26_vgpr27
	s_and_not1_saveexec_b32 s0, s0
	s_cbranch_execz .LBB10_16
.LBB10_18:                              ;   in Loop: Header=BB10_14 Depth=2
	global_load_b64 v[28:29], v[24:25], off
	v_add_nc_u32_e32 v6, v30, v26
	v_lshl_add_u32 v26, v26, 3, v31
	s_wait_loadcnt 0x0
	v_mul_f64_e32 v[28:29], v[10:11], v[28:29]
	ds_store_b8 v6, v40
	ds_store_b64 v26, v[28:29]
	s_wait_xcnt 0x0
	s_or_b32 exec_lo, exec_lo, s0
	s_mov_b32 s0, -1
	s_and_saveexec_b32 s21, vcc_lo
	s_cbranch_execz .LBB10_13
.LBB10_19:                              ;   in Loop: Header=BB10_14 Depth=2
	v_add_nc_u64_e32 v[0:1], 32, v[0:1]
	v_add_nc_u64_e32 v[22:23], 0x100, v[22:23]
	;; [unrolled: 1-line block ×3, first 2 shown]
	s_delay_alu instid0(VALU_DEP_3)
	v_cmp_ge_i64_e32 vcc_lo, v[0:1], v[2:3]
	s_or_not1_b32 s0, vcc_lo, exec_lo
	s_branch .LBB10_13
.LBB10_20:                              ;   in Loop: Header=BB10_11 Depth=1
	s_or_b32 exec_lo, exec_lo, s20
.LBB10_21:                              ;   in Loop: Header=BB10_11 Depth=1
	s_delay_alu instid0(SALU_CYCLE_1) | instskip(NEXT) | instid1(SALU_CYCLE_1)
	s_or_b32 exec_lo, exec_lo, s6
	s_mov_b32 s6, exec_lo
	s_wait_dscnt 0x0
	v_cmpx_lt_i64_e64 v[14:15], v[4:5]
	s_cbranch_execz .LBB10_31
; %bb.22:                               ;   in Loop: Header=BB10_11 Depth=1
	v_lshlrev_b64_e32 v[24:25], 3, v[14:15]
	s_mov_b32 s20, 0
	s_wait_kmcnt 0x0
	s_delay_alu instid0(VALU_DEP_1)
	v_add_nc_u64_e32 v[22:23], s[8:9], v[24:25]
	v_add_nc_u64_e32 v[24:25], s[16:17], v[24:25]
	s_branch .LBB10_24
.LBB10_23:                              ;   in Loop: Header=BB10_24 Depth=2
	s_or_b32 exec_lo, exec_lo, s21
	s_delay_alu instid0(SALU_CYCLE_1) | instskip(NEXT) | instid1(SALU_CYCLE_1)
	s_and_b32 s0, exec_lo, s0
	s_or_b32 s20, s0, s20
	s_delay_alu instid0(SALU_CYCLE_1)
	s_and_not1_b32 exec_lo, exec_lo, s20
	s_cbranch_execz .LBB10_30
.LBB10_24:                              ;   Parent Loop BB10_11 Depth=1
                                        ; =>  This Inner Loop Header: Depth=2
	global_load_b64 v[26:27], v[22:23], off
	s_wait_loadcnt 0x0
	v_sub_nc_u64_e64 v[28:29], v[26:27], s[4:5]
	s_delay_alu instid0(VALU_DEP_1) | instskip(NEXT) | instid1(VALU_DEP_1)
	v_sub_nc_u64_e32 v[26:27], v[28:29], v[18:19]
	v_cmp_lt_i64_e64 s0, 31, v[26:27]
	v_cmp_gt_i64_e32 vcc_lo, 32, v[26:27]
	s_wait_xcnt 0x0
	s_and_saveexec_b32 s21, s0
	s_delay_alu instid0(SALU_CYCLE_1)
	s_xor_b32 s0, exec_lo, s21
	s_cbranch_execnz .LBB10_27
; %bb.25:                               ;   in Loop: Header=BB10_24 Depth=2
	s_and_not1_saveexec_b32 s0, s0
	s_cbranch_execnz .LBB10_28
.LBB10_26:                              ;   in Loop: Header=BB10_24 Depth=2
	s_or_b32 exec_lo, exec_lo, s0
	s_mov_b32 s0, -1
	s_and_saveexec_b32 s21, vcc_lo
	s_cbranch_execz .LBB10_23
	s_branch .LBB10_29
.LBB10_27:                              ;   in Loop: Header=BB10_24 Depth=2
	v_min_i64 v[20:21], v[28:29], v[20:21]
                                        ; implicit-def: $vgpr26_vgpr27
	s_and_not1_saveexec_b32 s0, s0
	s_cbranch_execz .LBB10_26
.LBB10_28:                              ;   in Loop: Header=BB10_24 Depth=2
	global_load_b64 v[28:29], v[24:25], off
	v_lshl_add_u32 v6, v26, 3, v31
	v_add_nc_u32_e32 v26, v30, v26
	ds_load_b64 v[42:43], v6
	s_wait_loadcnt_dscnt 0x0
	v_fmac_f64_e32 v[42:43], v[12:13], v[28:29]
	ds_store_b8 v26, v40
	ds_store_b64 v6, v[42:43]
	s_wait_xcnt 0x0
	s_or_b32 exec_lo, exec_lo, s0
	s_mov_b32 s0, -1
	s_and_saveexec_b32 s21, vcc_lo
	s_cbranch_execz .LBB10_23
.LBB10_29:                              ;   in Loop: Header=BB10_24 Depth=2
	v_add_nc_u64_e32 v[14:15], 32, v[14:15]
	v_add_nc_u64_e32 v[22:23], 0x100, v[22:23]
	;; [unrolled: 1-line block ×3, first 2 shown]
	s_delay_alu instid0(VALU_DEP_3)
	v_cmp_ge_i64_e32 vcc_lo, v[14:15], v[4:5]
	s_or_not1_b32 s0, vcc_lo, exec_lo
	s_branch .LBB10_23
.LBB10_30:                              ;   in Loop: Header=BB10_11 Depth=1
	s_or_b32 exec_lo, exec_lo, s20
.LBB10_31:                              ;   in Loop: Header=BB10_11 Depth=1
	s_delay_alu instid0(SALU_CYCLE_1)
	s_or_b32 exec_lo, exec_lo, s6
	s_wait_dscnt 0x0
	ds_load_u8 v6, v39
	s_mov_b32 s6, exec_lo
	s_wait_dscnt 0x0
	v_and_b32_e32 v18, 1, v6
	v_cmp_ne_u16_e32 vcc_lo, 0, v6
	s_delay_alu instid0(VALU_DEP_2)
	v_cmpx_eq_u32_e32 1, v18
	s_cbranch_execz .LBB10_10
; %bb.32:                               ;   in Loop: Header=BB10_11 Depth=1
	v_and_b32_e32 v6, vcc_lo, v33
	ds_load_b64 v[18:19], v32
	s_wait_kmcnt 0x0
	v_lshl_add_u64 v[22:23], v[8:9], 3, s[12:13]
	v_bcnt_u32_b32 v6, v6, 0
	s_delay_alu instid0(VALU_DEP_1) | instskip(NEXT) | instid1(VALU_DEP_1)
	v_lshlrev_b32_e32 v6, 3, v6
	v_add_nc_u64_e32 v[22:23], v[22:23], v[6:7]
	s_wait_dscnt 0x0
	global_store_b64 v[22:23], v[18:19], off offset:-8
	s_branch .LBB10_10
.LBB10_33:
	s_endpgm
	.section	.rodata,"a",@progbits
	.p2align	6, 0x0
	.amdhsa_kernel _ZN9rocsparseL37csrgeam_fill_numeric_multipass_kernelILj256ELj32ElldEEvllNS_24const_host_device_scalarIT3_EEPKT1_PKT2_PKS2_S3_S6_S9_SB_S6_PS2_21rocsparse_index_base_SD_SD_bbb
		.amdhsa_group_segment_fixed_size 2304
		.amdhsa_private_segment_fixed_size 0
		.amdhsa_kernarg_size 112
		.amdhsa_user_sgpr_count 2
		.amdhsa_user_sgpr_dispatch_ptr 0
		.amdhsa_user_sgpr_queue_ptr 0
		.amdhsa_user_sgpr_kernarg_segment_ptr 1
		.amdhsa_user_sgpr_dispatch_id 0
		.amdhsa_user_sgpr_kernarg_preload_length 0
		.amdhsa_user_sgpr_kernarg_preload_offset 0
		.amdhsa_user_sgpr_private_segment_size 0
		.amdhsa_wavefront_size32 1
		.amdhsa_uses_dynamic_stack 0
		.amdhsa_enable_private_segment 0
		.amdhsa_system_sgpr_workgroup_id_x 1
		.amdhsa_system_sgpr_workgroup_id_y 0
		.amdhsa_system_sgpr_workgroup_id_z 0
		.amdhsa_system_sgpr_workgroup_info 0
		.amdhsa_system_vgpr_workitem_id 0
		.amdhsa_next_free_vgpr 44
		.amdhsa_next_free_sgpr 22
		.amdhsa_named_barrier_count 0
		.amdhsa_reserve_vcc 1
		.amdhsa_float_round_mode_32 0
		.amdhsa_float_round_mode_16_64 0
		.amdhsa_float_denorm_mode_32 3
		.amdhsa_float_denorm_mode_16_64 3
		.amdhsa_fp16_overflow 0
		.amdhsa_memory_ordered 1
		.amdhsa_forward_progress 1
		.amdhsa_inst_pref_size 14
		.amdhsa_round_robin_scheduling 0
		.amdhsa_exception_fp_ieee_invalid_op 0
		.amdhsa_exception_fp_denorm_src 0
		.amdhsa_exception_fp_ieee_div_zero 0
		.amdhsa_exception_fp_ieee_overflow 0
		.amdhsa_exception_fp_ieee_underflow 0
		.amdhsa_exception_fp_ieee_inexact 0
		.amdhsa_exception_int_div_zero 0
	.end_amdhsa_kernel
	.section	.text._ZN9rocsparseL37csrgeam_fill_numeric_multipass_kernelILj256ELj32ElldEEvllNS_24const_host_device_scalarIT3_EEPKT1_PKT2_PKS2_S3_S6_S9_SB_S6_PS2_21rocsparse_index_base_SD_SD_bbb,"axG",@progbits,_ZN9rocsparseL37csrgeam_fill_numeric_multipass_kernelILj256ELj32ElldEEvllNS_24const_host_device_scalarIT3_EEPKT1_PKT2_PKS2_S3_S6_S9_SB_S6_PS2_21rocsparse_index_base_SD_SD_bbb,comdat
.Lfunc_end10:
	.size	_ZN9rocsparseL37csrgeam_fill_numeric_multipass_kernelILj256ELj32ElldEEvllNS_24const_host_device_scalarIT3_EEPKT1_PKT2_PKS2_S3_S6_S9_SB_S6_PS2_21rocsparse_index_base_SD_SD_bbb, .Lfunc_end10-_ZN9rocsparseL37csrgeam_fill_numeric_multipass_kernelILj256ELj32ElldEEvllNS_24const_host_device_scalarIT3_EEPKT1_PKT2_PKS2_S3_S6_S9_SB_S6_PS2_21rocsparse_index_base_SD_SD_bbb
                                        ; -- End function
	.set _ZN9rocsparseL37csrgeam_fill_numeric_multipass_kernelILj256ELj32ElldEEvllNS_24const_host_device_scalarIT3_EEPKT1_PKT2_PKS2_S3_S6_S9_SB_S6_PS2_21rocsparse_index_base_SD_SD_bbb.num_vgpr, 44
	.set _ZN9rocsparseL37csrgeam_fill_numeric_multipass_kernelILj256ELj32ElldEEvllNS_24const_host_device_scalarIT3_EEPKT1_PKT2_PKS2_S3_S6_S9_SB_S6_PS2_21rocsparse_index_base_SD_SD_bbb.num_agpr, 0
	.set _ZN9rocsparseL37csrgeam_fill_numeric_multipass_kernelILj256ELj32ElldEEvllNS_24const_host_device_scalarIT3_EEPKT1_PKT2_PKS2_S3_S6_S9_SB_S6_PS2_21rocsparse_index_base_SD_SD_bbb.numbered_sgpr, 22
	.set _ZN9rocsparseL37csrgeam_fill_numeric_multipass_kernelILj256ELj32ElldEEvllNS_24const_host_device_scalarIT3_EEPKT1_PKT2_PKS2_S3_S6_S9_SB_S6_PS2_21rocsparse_index_base_SD_SD_bbb.num_named_barrier, 0
	.set _ZN9rocsparseL37csrgeam_fill_numeric_multipass_kernelILj256ELj32ElldEEvllNS_24const_host_device_scalarIT3_EEPKT1_PKT2_PKS2_S3_S6_S9_SB_S6_PS2_21rocsparse_index_base_SD_SD_bbb.private_seg_size, 0
	.set _ZN9rocsparseL37csrgeam_fill_numeric_multipass_kernelILj256ELj32ElldEEvllNS_24const_host_device_scalarIT3_EEPKT1_PKT2_PKS2_S3_S6_S9_SB_S6_PS2_21rocsparse_index_base_SD_SD_bbb.uses_vcc, 1
	.set _ZN9rocsparseL37csrgeam_fill_numeric_multipass_kernelILj256ELj32ElldEEvllNS_24const_host_device_scalarIT3_EEPKT1_PKT2_PKS2_S3_S6_S9_SB_S6_PS2_21rocsparse_index_base_SD_SD_bbb.uses_flat_scratch, 0
	.set _ZN9rocsparseL37csrgeam_fill_numeric_multipass_kernelILj256ELj32ElldEEvllNS_24const_host_device_scalarIT3_EEPKT1_PKT2_PKS2_S3_S6_S9_SB_S6_PS2_21rocsparse_index_base_SD_SD_bbb.has_dyn_sized_stack, 0
	.set _ZN9rocsparseL37csrgeam_fill_numeric_multipass_kernelILj256ELj32ElldEEvllNS_24const_host_device_scalarIT3_EEPKT1_PKT2_PKS2_S3_S6_S9_SB_S6_PS2_21rocsparse_index_base_SD_SD_bbb.has_recursion, 0
	.set _ZN9rocsparseL37csrgeam_fill_numeric_multipass_kernelILj256ELj32ElldEEvllNS_24const_host_device_scalarIT3_EEPKT1_PKT2_PKS2_S3_S6_S9_SB_S6_PS2_21rocsparse_index_base_SD_SD_bbb.has_indirect_call, 0
	.section	.AMDGPU.csdata,"",@progbits
; Kernel info:
; codeLenInByte = 1708
; TotalNumSgprs: 24
; NumVgprs: 44
; ScratchSize: 0
; MemoryBound: 0
; FloatMode: 240
; IeeeMode: 1
; LDSByteSize: 2304 bytes/workgroup (compile time only)
; SGPRBlocks: 0
; VGPRBlocks: 2
; NumSGPRsForWavesPerEU: 24
; NumVGPRsForWavesPerEU: 44
; NamedBarCnt: 0
; Occupancy: 16
; WaveLimiterHint : 1
; COMPUTE_PGM_RSRC2:SCRATCH_EN: 0
; COMPUTE_PGM_RSRC2:USER_SGPR: 2
; COMPUTE_PGM_RSRC2:TRAP_HANDLER: 0
; COMPUTE_PGM_RSRC2:TGID_X_EN: 1
; COMPUTE_PGM_RSRC2:TGID_Y_EN: 0
; COMPUTE_PGM_RSRC2:TGID_Z_EN: 0
; COMPUTE_PGM_RSRC2:TIDIG_COMP_CNT: 0
	.section	.text._ZN9rocsparseL37csrgeam_fill_numeric_multipass_kernelILj256ELj64ElldEEvllNS_24const_host_device_scalarIT3_EEPKT1_PKT2_PKS2_S3_S6_S9_SB_S6_PS2_21rocsparse_index_base_SD_SD_bbb,"axG",@progbits,_ZN9rocsparseL37csrgeam_fill_numeric_multipass_kernelILj256ELj64ElldEEvllNS_24const_host_device_scalarIT3_EEPKT1_PKT2_PKS2_S3_S6_S9_SB_S6_PS2_21rocsparse_index_base_SD_SD_bbb,comdat
	.globl	_ZN9rocsparseL37csrgeam_fill_numeric_multipass_kernelILj256ELj64ElldEEvllNS_24const_host_device_scalarIT3_EEPKT1_PKT2_PKS2_S3_S6_S9_SB_S6_PS2_21rocsparse_index_base_SD_SD_bbb ; -- Begin function _ZN9rocsparseL37csrgeam_fill_numeric_multipass_kernelILj256ELj64ElldEEvllNS_24const_host_device_scalarIT3_EEPKT1_PKT2_PKS2_S3_S6_S9_SB_S6_PS2_21rocsparse_index_base_SD_SD_bbb
	.p2align	8
	.type	_ZN9rocsparseL37csrgeam_fill_numeric_multipass_kernelILj256ELj64ElldEEvllNS_24const_host_device_scalarIT3_EEPKT1_PKT2_PKS2_S3_S6_S9_SB_S6_PS2_21rocsparse_index_base_SD_SD_bbb,@function
_ZN9rocsparseL37csrgeam_fill_numeric_multipass_kernelILj256ELj64ElldEEvllNS_24const_host_device_scalarIT3_EEPKT1_PKT2_PKS2_S3_S6_S9_SB_S6_PS2_21rocsparse_index_base_SD_SD_bbb: ; @_ZN9rocsparseL37csrgeam_fill_numeric_multipass_kernelILj256ELj64ElldEEvllNS_24const_host_device_scalarIT3_EEPKT1_PKT2_PKS2_S3_S6_S9_SB_S6_PS2_21rocsparse_index_base_SD_SD_bbb
; %bb.0:
	s_clause 0x4
	s_load_b128 s[4:7], s[0:1], 0x60
	s_load_b32 s14, s[0:1], 0x6c
	s_load_b64 s[12:13], s[0:1], 0x10
	s_load_b64 s[2:3], s[0:1], 0x30
	s_load_b128 s[8:11], s[0:1], 0x0
	s_wait_kmcnt 0x0
	s_bitcmp1_b32 s7, 0
	s_cselect_b32 s15, -1, 0
	s_bitcmp1_b32 s14, 16
	s_cselect_b32 s7, -1, 0
	s_xor_b32 s16, s15, -1
	s_delay_alu instid0(SALU_CYCLE_1)
	s_or_b32 s18, s7, s16
	s_and_b32 s15, s15, exec_lo
	s_cselect_b32 s17, s13, 0
	s_cselect_b32 s16, s12, 0
	s_and_b32 vcc_lo, exec_lo, s18
	v_mov_b64_e32 v[10:11], s[16:17]
	s_cbranch_vccnz .LBB11_2
; %bb.1:
	v_mov_b32_e32 v1, 0
	flat_load_b64 v[10:11], v1, s[12:13]
.LBB11_2:
	s_bitcmp1_b32 s14, 8
	s_wait_xcnt 0x0
	s_cselect_b32 s12, -1, 0
	s_delay_alu instid0(SALU_CYCLE_1) | instskip(NEXT) | instid1(SALU_CYCLE_1)
	s_xor_b32 s13, s12, -1
	s_or_b32 s7, s7, s13
	s_and_b32 s12, s12, exec_lo
	s_cselect_b32 s13, s3, 0
	s_cselect_b32 s12, s2, 0
	s_and_b32 vcc_lo, exec_lo, s7
	v_mov_b64_e32 v[12:13], s[12:13]
	s_cbranch_vccnz .LBB11_4
; %bb.3:
	v_mov_b32_e32 v1, 0
	flat_load_b64 v[12:13], v1, s[2:3]
.LBB11_4:
	s_wait_xcnt 0x0
	s_bfe_u32 s2, ttmp6, 0x4000c
	s_and_b32 s3, ttmp6, 15
	s_add_co_i32 s2, s2, 1
	s_getreg_b32 s7, hwreg(HW_REG_IB_STS2, 6, 4)
	s_mul_i32 s2, ttmp9, s2
	v_dual_lshrrev_b32 v1, 6, v0 :: v_dual_mov_b32 v17, 0
	s_add_co_i32 s3, s3, s2
	s_cmp_eq_u32 s7, 0
	s_cselect_b32 s2, ttmp9, s3
	s_mov_b32 s3, 0
	s_lshl_b32 s2, s2, 2
	s_delay_alu instid0(SALU_CYCLE_1) | instskip(SKIP_1) | instid1(VALU_DEP_1)
	v_and_or_b32 v16, 0x3fffffc, s2, v1
	s_mov_b32 s2, exec_lo
	v_cmpx_gt_i64_e64 s[8:9], v[16:17]
	s_cbranch_execz .LBB11_33
; %bb.5:
	s_clause 0x2
	s_load_b128 s[12:15], s[0:1], 0x18
	s_load_b64 s[8:9], s[0:1], 0x38
	s_load_b64 s[16:17], s[0:1], 0x50
	v_lshlrev_b32_e32 v1, 3, v16
	s_mov_b32 s2, s4
	v_mov_b64_e32 v[18:19], s[10:11]
	s_mov_b32 s4, exec_lo
	s_wait_kmcnt 0x0
	s_clause 0x1
	global_load_b128 v[2:5], v1, s[12:13]
	global_load_b128 v[6:9], v1, s[8:9]
	global_load_b64 v[14:15], v16, s[16:17] scale_offset
	s_wait_loadcnt 0x2
	s_wait_xcnt 0x0
	v_sub_nc_u64_e64 v[16:17], v[2:3], s[2:3]
	v_cmpx_lt_i64_e64 v[2:3], v[4:5]
	s_cbranch_execz .LBB11_7
; %bb.6:
	s_delay_alu instid0(VALU_DEP_2)
	v_lshl_add_u64 v[2:3], v[16:17], 3, s[14:15]
	global_load_b64 v[2:3], v[2:3], off
	s_wait_loadcnt 0x0
	v_sub_nc_u64_e64 v[18:19], v[2:3], s[2:3]
.LBB11_7:
	s_or_b32 exec_lo, exec_lo, s4
	s_load_b64 s[8:9], s[0:1], 0x40
	s_mov_b32 s7, 0
	s_mov_b32 s4, s5
	s_mov_b32 s5, s7
	v_mov_b64_e32 v[20:21], s[10:11]
	s_wait_loadcnt 0x1
	v_sub_nc_u64_e64 v[22:23], v[6:7], s[4:5]
	s_mov_b32 s12, exec_lo
	v_cmpx_lt_i64_e64 v[6:7], v[8:9]
	s_cbranch_execz .LBB11_9
; %bb.8:
	s_wait_kmcnt 0x0
	s_delay_alu instid0(VALU_DEP_2)
	v_lshl_add_u64 v[2:3], v[22:23], 3, s[8:9]
	global_load_b64 v[2:3], v[2:3], off
	s_wait_loadcnt 0x0
	v_sub_nc_u64_e64 v[20:21], v[2:3], s[4:5]
.LBB11_9:
	s_or_b32 exec_lo, exec_lo, s12
	v_and_b32_e32 v1, 0xc0, v0
	v_mbcnt_lo_u32_b32 v24, -1, 0
	v_sub_nc_u64_e64 v[2:3], v[4:5], s[2:3]
	v_mov_b32_e32 v5, 0
	v_sub_nc_u64_e64 v[6:7], v[8:9], s[4:5]
	v_or_b32_e32 v32, 0x800, v1
	v_dual_lshlrev_b32 v33, 3, v1 :: v_dual_bitop2_b32 v4, 63, v0 bitop3:0x40
	v_or_b32_e32 v1, 32, v24
	s_wait_loadcnt 0x0
	v_sub_nc_u64_e64 v[8:9], v[14:15], s[6:7]
	v_min_i64 v[20:21], v[20:21], v[18:19]
	s_clause 0x2
	s_load_b64 s[12:13], s[0:1], 0x58
	s_load_b64 s[16:17], s[0:1], 0x48
	;; [unrolled: 1-line block ×3, first 2 shown]
	v_add_nc_u64_e32 v[14:15], v[16:17], v[4:5]
	v_cmp_gt_i32_e32 vcc_lo, 32, v1
	v_bitop3_b32 v16, v0, 63, v0 bitop3:0xc
	v_xor_b32_e32 v19, 16, v24
	v_lshl_or_b32 v34, v4, 3, v33
	v_add_nc_u32_e32 v40, v32, v4
	v_cndmask_b32_e32 v18, v24, v1, vcc_lo
	v_lshrrev_b64 v[16:17], v16, -1
	v_cmp_gt_i32_e32 vcc_lo, 32, v19
	v_add_nc_u64_e32 v[0:1], v[22:23], v[4:5]
	s_wait_xcnt 0x0
	s_mov_b32 s1, 0
	v_dual_lshlrev_b32 v17, 2, v18 :: v_dual_bitop2_b32 v18, 8, v24 bitop3:0x14
	v_dual_cndmask_b32 v19, v24, v19, vcc_lo :: v_dual_bitop2_b32 v22, 4, v24 bitop3:0x14
	v_mov_b32_e32 v41, 1
	s_delay_alu instid0(VALU_DEP_3) | instskip(SKIP_1) | instid1(VALU_DEP_4)
	v_cmp_gt_i32_e32 vcc_lo, 32, v18
	v_dual_cndmask_b32 v18, v24, v18, vcc_lo :: v_dual_bitop2_b32 v23, 2, v24 bitop3:0x14
	v_cmp_gt_i32_e32 vcc_lo, 32, v22
	v_dual_lshlrev_b32 v35, 2, v19 :: v_dual_bitop2_b32 v25, 1, v24 bitop3:0x14
	s_delay_alu instid0(VALU_DEP_3)
	v_lshlrev_b32_e32 v36, 2, v18
	v_cndmask_b32_e32 v22, v24, v22, vcc_lo
	v_cmp_gt_i32_e32 vcc_lo, 32, v23
	v_mov_b64_e32 v[18:19], 0
	v_cndmask_b32_e32 v23, v24, v23, vcc_lo
	v_cmp_gt_i32_e32 vcc_lo, 32, v25
	v_dual_cndmask_b32 v24, v24, v25 :: v_dual_lshlrev_b32 v37, 2, v22
	s_delay_alu instid0(VALU_DEP_1)
	v_dual_lshlrev_b32 v38, 2, v23 :: v_dual_lshlrev_b32 v39, 2, v24
	s_branch .LBB11_11
.LBB11_10:                              ;   in Loop: Header=BB11_11 Depth=1
	s_wait_xcnt 0x0
	s_or_b32 exec_lo, exec_lo, s6
	ds_bpermute_b32 v20, v17, v22
	ds_bpermute_b32 v21, v17, v23
	s_bcnt1_i32_b32 s6, vcc_lo
	s_delay_alu instid0(SALU_CYCLE_1)
	v_add_nc_u64_e32 v[8:9], s[6:7], v[8:9]
	s_wait_dscnt 0x0
	v_min_i64 v[20:21], v[20:21], v[22:23]
	ds_bpermute_b32 v22, v35, v20
	ds_bpermute_b32 v23, v35, v21
	s_wait_dscnt 0x0
	v_min_i64 v[20:21], v[22:23], v[20:21]
	ds_bpermute_b32 v22, v36, v20
	ds_bpermute_b32 v23, v36, v21
	;; [unrolled: 4-line block ×5, first 2 shown]
	s_wait_dscnt 0x0
	v_min_i64 v[20:21], v[22:23], v[20:21]
	s_delay_alu instid0(VALU_DEP_1) | instskip(SKIP_1) | instid1(SALU_CYCLE_1)
	v_cmp_le_i64_e64 s0, s[10:11], v[20:21]
	s_or_b32 s1, s0, s1
	s_and_not1_b32 exec_lo, exec_lo, s1
	s_cbranch_execz .LBB11_33
.LBB11_11:                              ; =>This Loop Header: Depth=1
                                        ;     Child Loop BB11_14 Depth 2
                                        ;     Child Loop BB11_24 Depth 2
	v_mov_b64_e32 v[22:23], s[10:11]
	s_mov_b32 s6, exec_lo
	ds_store_b8 v40, v5
	ds_store_b64 v34, v[18:19]
	s_wait_dscnt 0x0
	v_cmpx_lt_i64_e64 v[14:15], v[2:3]
	s_cbranch_execz .LBB11_21
; %bb.12:                               ;   in Loop: Header=BB11_11 Depth=1
	v_lshlrev_b64_e32 v[22:23], 3, v[14:15]
	s_mov_b32 s20, 0
	s_delay_alu instid0(VALU_DEP_1)
	v_add_nc_u64_e32 v[24:25], s[14:15], v[22:23]
	s_wait_kmcnt 0x0
	v_add_nc_u64_e32 v[26:27], s[18:19], v[22:23]
	v_mov_b64_e32 v[22:23], s[10:11]
	s_branch .LBB11_14
.LBB11_13:                              ;   in Loop: Header=BB11_14 Depth=2
	s_or_b32 exec_lo, exec_lo, s21
	s_delay_alu instid0(SALU_CYCLE_1) | instskip(NEXT) | instid1(SALU_CYCLE_1)
	s_and_b32 s0, exec_lo, s0
	s_or_b32 s20, s0, s20
	s_delay_alu instid0(SALU_CYCLE_1)
	s_and_not1_b32 exec_lo, exec_lo, s20
	s_cbranch_execz .LBB11_20
.LBB11_14:                              ;   Parent Loop BB11_11 Depth=1
                                        ; =>  This Inner Loop Header: Depth=2
	global_load_b64 v[28:29], v[24:25], off
	s_wait_loadcnt 0x0
	v_sub_nc_u64_e64 v[30:31], v[28:29], s[2:3]
	s_delay_alu instid0(VALU_DEP_1) | instskip(NEXT) | instid1(VALU_DEP_1)
	v_sub_nc_u64_e32 v[28:29], v[30:31], v[20:21]
	v_cmp_lt_i64_e64 s0, 63, v[28:29]
	v_cmp_gt_i64_e32 vcc_lo, 64, v[28:29]
	s_wait_xcnt 0x0
	s_and_saveexec_b32 s21, s0
	s_delay_alu instid0(SALU_CYCLE_1)
	s_xor_b32 s0, exec_lo, s21
	s_cbranch_execnz .LBB11_17
; %bb.15:                               ;   in Loop: Header=BB11_14 Depth=2
	s_and_not1_saveexec_b32 s0, s0
	s_cbranch_execnz .LBB11_18
.LBB11_16:                              ;   in Loop: Header=BB11_14 Depth=2
	s_or_b32 exec_lo, exec_lo, s0
	s_mov_b32 s0, -1
	s_and_saveexec_b32 s21, vcc_lo
	s_cbranch_execz .LBB11_13
	s_branch .LBB11_19
.LBB11_17:                              ;   in Loop: Header=BB11_14 Depth=2
	v_min_i64 v[22:23], v[30:31], v[22:23]
                                        ; implicit-def: $vgpr28_vgpr29
	s_and_not1_saveexec_b32 s0, s0
	s_cbranch_execz .LBB11_16
.LBB11_18:                              ;   in Loop: Header=BB11_14 Depth=2
	global_load_b64 v[30:31], v[26:27], off
	v_add_nc_u32_e32 v4, v32, v28
	v_lshl_add_u32 v28, v28, 3, v33
	s_wait_loadcnt 0x0
	v_mul_f64_e32 v[30:31], v[10:11], v[30:31]
	ds_store_b8 v4, v41
	ds_store_b64 v28, v[30:31]
	s_wait_xcnt 0x0
	s_or_b32 exec_lo, exec_lo, s0
	s_mov_b32 s0, -1
	s_and_saveexec_b32 s21, vcc_lo
	s_cbranch_execz .LBB11_13
.LBB11_19:                              ;   in Loop: Header=BB11_14 Depth=2
	v_add_nc_u64_e32 v[14:15], 64, v[14:15]
	v_add_nc_u64_e32 v[24:25], 0x200, v[24:25]
	;; [unrolled: 1-line block ×3, first 2 shown]
	s_delay_alu instid0(VALU_DEP_3)
	v_cmp_ge_i64_e32 vcc_lo, v[14:15], v[2:3]
	s_or_not1_b32 s0, vcc_lo, exec_lo
	s_branch .LBB11_13
.LBB11_20:                              ;   in Loop: Header=BB11_11 Depth=1
	s_or_b32 exec_lo, exec_lo, s20
.LBB11_21:                              ;   in Loop: Header=BB11_11 Depth=1
	s_delay_alu instid0(SALU_CYCLE_1) | instskip(NEXT) | instid1(SALU_CYCLE_1)
	s_or_b32 exec_lo, exec_lo, s6
	s_mov_b32 s6, exec_lo
	s_wait_dscnt 0x0
	v_cmpx_lt_i64_e64 v[0:1], v[6:7]
	s_cbranch_execz .LBB11_31
; %bb.22:                               ;   in Loop: Header=BB11_11 Depth=1
	v_lshlrev_b64_e32 v[26:27], 3, v[0:1]
	s_mov_b32 s20, 0
	s_wait_kmcnt 0x0
	s_delay_alu instid0(VALU_DEP_1)
	v_add_nc_u64_e32 v[24:25], s[8:9], v[26:27]
	v_add_nc_u64_e32 v[26:27], s[16:17], v[26:27]
	s_branch .LBB11_24
.LBB11_23:                              ;   in Loop: Header=BB11_24 Depth=2
	s_or_b32 exec_lo, exec_lo, s21
	s_delay_alu instid0(SALU_CYCLE_1) | instskip(NEXT) | instid1(SALU_CYCLE_1)
	s_and_b32 s0, exec_lo, s0
	s_or_b32 s20, s0, s20
	s_delay_alu instid0(SALU_CYCLE_1)
	s_and_not1_b32 exec_lo, exec_lo, s20
	s_cbranch_execz .LBB11_30
.LBB11_24:                              ;   Parent Loop BB11_11 Depth=1
                                        ; =>  This Inner Loop Header: Depth=2
	global_load_b64 v[28:29], v[24:25], off
	s_wait_loadcnt 0x0
	v_sub_nc_u64_e64 v[30:31], v[28:29], s[4:5]
	s_delay_alu instid0(VALU_DEP_1) | instskip(NEXT) | instid1(VALU_DEP_1)
	v_sub_nc_u64_e32 v[28:29], v[30:31], v[20:21]
	v_cmp_lt_i64_e64 s0, 63, v[28:29]
	v_cmp_gt_i64_e32 vcc_lo, 64, v[28:29]
	s_wait_xcnt 0x0
	s_and_saveexec_b32 s21, s0
	s_delay_alu instid0(SALU_CYCLE_1)
	s_xor_b32 s0, exec_lo, s21
	s_cbranch_execnz .LBB11_27
; %bb.25:                               ;   in Loop: Header=BB11_24 Depth=2
	s_and_not1_saveexec_b32 s0, s0
	s_cbranch_execnz .LBB11_28
.LBB11_26:                              ;   in Loop: Header=BB11_24 Depth=2
	s_or_b32 exec_lo, exec_lo, s0
	s_mov_b32 s0, -1
	s_and_saveexec_b32 s21, vcc_lo
	s_cbranch_execz .LBB11_23
	s_branch .LBB11_29
.LBB11_27:                              ;   in Loop: Header=BB11_24 Depth=2
	v_min_i64 v[22:23], v[30:31], v[22:23]
                                        ; implicit-def: $vgpr28_vgpr29
	s_and_not1_saveexec_b32 s0, s0
	s_cbranch_execz .LBB11_26
.LBB11_28:                              ;   in Loop: Header=BB11_24 Depth=2
	global_load_b64 v[30:31], v[26:27], off
	v_lshl_add_u32 v4, v28, 3, v33
	v_add_nc_u32_e32 v28, v32, v28
	ds_load_b64 v[42:43], v4
	s_wait_loadcnt_dscnt 0x0
	v_fmac_f64_e32 v[42:43], v[12:13], v[30:31]
	ds_store_b8 v28, v41
	ds_store_b64 v4, v[42:43]
	s_wait_xcnt 0x0
	s_or_b32 exec_lo, exec_lo, s0
	s_mov_b32 s0, -1
	s_and_saveexec_b32 s21, vcc_lo
	s_cbranch_execz .LBB11_23
.LBB11_29:                              ;   in Loop: Header=BB11_24 Depth=2
	v_add_nc_u64_e32 v[0:1], 64, v[0:1]
	v_add_nc_u64_e32 v[24:25], 0x200, v[24:25]
	;; [unrolled: 1-line block ×3, first 2 shown]
	s_delay_alu instid0(VALU_DEP_3)
	v_cmp_ge_i64_e32 vcc_lo, v[0:1], v[6:7]
	s_or_not1_b32 s0, vcc_lo, exec_lo
	s_branch .LBB11_23
.LBB11_30:                              ;   in Loop: Header=BB11_11 Depth=1
	s_or_b32 exec_lo, exec_lo, s20
.LBB11_31:                              ;   in Loop: Header=BB11_11 Depth=1
	s_delay_alu instid0(SALU_CYCLE_1)
	s_or_b32 exec_lo, exec_lo, s6
	s_wait_dscnt 0x0
	ds_load_u8 v4, v40
	s_mov_b32 s6, exec_lo
	s_wait_dscnt 0x0
	v_and_b32_e32 v20, 1, v4
	v_cmp_ne_u16_e32 vcc_lo, 0, v4
	s_delay_alu instid0(VALU_DEP_2)
	v_cmpx_eq_u32_e32 1, v20
	s_cbranch_execz .LBB11_10
; %bb.32:                               ;   in Loop: Header=BB11_11 Depth=1
	v_and_b32_e32 v4, vcc_lo, v16
	ds_load_b64 v[20:21], v34
	s_wait_kmcnt 0x0
	v_lshl_add_u64 v[24:25], v[8:9], 3, s[12:13]
	v_bcnt_u32_b32 v4, v4, 0
	s_delay_alu instid0(VALU_DEP_1) | instskip(NEXT) | instid1(VALU_DEP_1)
	v_lshlrev_b32_e32 v4, 3, v4
	v_add_nc_u64_e32 v[24:25], v[24:25], v[4:5]
	s_wait_dscnt 0x0
	global_store_b64 v[24:25], v[20:21], off offset:-8
	s_branch .LBB11_10
.LBB11_33:
	s_endpgm
	.section	.rodata,"a",@progbits
	.p2align	6, 0x0
	.amdhsa_kernel _ZN9rocsparseL37csrgeam_fill_numeric_multipass_kernelILj256ELj64ElldEEvllNS_24const_host_device_scalarIT3_EEPKT1_PKT2_PKS2_S3_S6_S9_SB_S6_PS2_21rocsparse_index_base_SD_SD_bbb
		.amdhsa_group_segment_fixed_size 2304
		.amdhsa_private_segment_fixed_size 0
		.amdhsa_kernarg_size 112
		.amdhsa_user_sgpr_count 2
		.amdhsa_user_sgpr_dispatch_ptr 0
		.amdhsa_user_sgpr_queue_ptr 0
		.amdhsa_user_sgpr_kernarg_segment_ptr 1
		.amdhsa_user_sgpr_dispatch_id 0
		.amdhsa_user_sgpr_kernarg_preload_length 0
		.amdhsa_user_sgpr_kernarg_preload_offset 0
		.amdhsa_user_sgpr_private_segment_size 0
		.amdhsa_wavefront_size32 1
		.amdhsa_uses_dynamic_stack 0
		.amdhsa_enable_private_segment 0
		.amdhsa_system_sgpr_workgroup_id_x 1
		.amdhsa_system_sgpr_workgroup_id_y 0
		.amdhsa_system_sgpr_workgroup_id_z 0
		.amdhsa_system_sgpr_workgroup_info 0
		.amdhsa_system_vgpr_workitem_id 0
		.amdhsa_next_free_vgpr 44
		.amdhsa_next_free_sgpr 22
		.amdhsa_named_barrier_count 0
		.amdhsa_reserve_vcc 1
		.amdhsa_float_round_mode_32 0
		.amdhsa_float_round_mode_16_64 0
		.amdhsa_float_denorm_mode_32 3
		.amdhsa_float_denorm_mode_16_64 3
		.amdhsa_fp16_overflow 0
		.amdhsa_memory_ordered 1
		.amdhsa_forward_progress 1
		.amdhsa_inst_pref_size 14
		.amdhsa_round_robin_scheduling 0
		.amdhsa_exception_fp_ieee_invalid_op 0
		.amdhsa_exception_fp_denorm_src 0
		.amdhsa_exception_fp_ieee_div_zero 0
		.amdhsa_exception_fp_ieee_overflow 0
		.amdhsa_exception_fp_ieee_underflow 0
		.amdhsa_exception_fp_ieee_inexact 0
		.amdhsa_exception_int_div_zero 0
	.end_amdhsa_kernel
	.section	.text._ZN9rocsparseL37csrgeam_fill_numeric_multipass_kernelILj256ELj64ElldEEvllNS_24const_host_device_scalarIT3_EEPKT1_PKT2_PKS2_S3_S6_S9_SB_S6_PS2_21rocsparse_index_base_SD_SD_bbb,"axG",@progbits,_ZN9rocsparseL37csrgeam_fill_numeric_multipass_kernelILj256ELj64ElldEEvllNS_24const_host_device_scalarIT3_EEPKT1_PKT2_PKS2_S3_S6_S9_SB_S6_PS2_21rocsparse_index_base_SD_SD_bbb,comdat
.Lfunc_end11:
	.size	_ZN9rocsparseL37csrgeam_fill_numeric_multipass_kernelILj256ELj64ElldEEvllNS_24const_host_device_scalarIT3_EEPKT1_PKT2_PKS2_S3_S6_S9_SB_S6_PS2_21rocsparse_index_base_SD_SD_bbb, .Lfunc_end11-_ZN9rocsparseL37csrgeam_fill_numeric_multipass_kernelILj256ELj64ElldEEvllNS_24const_host_device_scalarIT3_EEPKT1_PKT2_PKS2_S3_S6_S9_SB_S6_PS2_21rocsparse_index_base_SD_SD_bbb
                                        ; -- End function
	.set _ZN9rocsparseL37csrgeam_fill_numeric_multipass_kernelILj256ELj64ElldEEvllNS_24const_host_device_scalarIT3_EEPKT1_PKT2_PKS2_S3_S6_S9_SB_S6_PS2_21rocsparse_index_base_SD_SD_bbb.num_vgpr, 44
	.set _ZN9rocsparseL37csrgeam_fill_numeric_multipass_kernelILj256ELj64ElldEEvllNS_24const_host_device_scalarIT3_EEPKT1_PKT2_PKS2_S3_S6_S9_SB_S6_PS2_21rocsparse_index_base_SD_SD_bbb.num_agpr, 0
	.set _ZN9rocsparseL37csrgeam_fill_numeric_multipass_kernelILj256ELj64ElldEEvllNS_24const_host_device_scalarIT3_EEPKT1_PKT2_PKS2_S3_S6_S9_SB_S6_PS2_21rocsparse_index_base_SD_SD_bbb.numbered_sgpr, 22
	.set _ZN9rocsparseL37csrgeam_fill_numeric_multipass_kernelILj256ELj64ElldEEvllNS_24const_host_device_scalarIT3_EEPKT1_PKT2_PKS2_S3_S6_S9_SB_S6_PS2_21rocsparse_index_base_SD_SD_bbb.num_named_barrier, 0
	.set _ZN9rocsparseL37csrgeam_fill_numeric_multipass_kernelILj256ELj64ElldEEvllNS_24const_host_device_scalarIT3_EEPKT1_PKT2_PKS2_S3_S6_S9_SB_S6_PS2_21rocsparse_index_base_SD_SD_bbb.private_seg_size, 0
	.set _ZN9rocsparseL37csrgeam_fill_numeric_multipass_kernelILj256ELj64ElldEEvllNS_24const_host_device_scalarIT3_EEPKT1_PKT2_PKS2_S3_S6_S9_SB_S6_PS2_21rocsparse_index_base_SD_SD_bbb.uses_vcc, 1
	.set _ZN9rocsparseL37csrgeam_fill_numeric_multipass_kernelILj256ELj64ElldEEvllNS_24const_host_device_scalarIT3_EEPKT1_PKT2_PKS2_S3_S6_S9_SB_S6_PS2_21rocsparse_index_base_SD_SD_bbb.uses_flat_scratch, 0
	.set _ZN9rocsparseL37csrgeam_fill_numeric_multipass_kernelILj256ELj64ElldEEvllNS_24const_host_device_scalarIT3_EEPKT1_PKT2_PKS2_S3_S6_S9_SB_S6_PS2_21rocsparse_index_base_SD_SD_bbb.has_dyn_sized_stack, 0
	.set _ZN9rocsparseL37csrgeam_fill_numeric_multipass_kernelILj256ELj64ElldEEvllNS_24const_host_device_scalarIT3_EEPKT1_PKT2_PKS2_S3_S6_S9_SB_S6_PS2_21rocsparse_index_base_SD_SD_bbb.has_recursion, 0
	.set _ZN9rocsparseL37csrgeam_fill_numeric_multipass_kernelILj256ELj64ElldEEvllNS_24const_host_device_scalarIT3_EEPKT1_PKT2_PKS2_S3_S6_S9_SB_S6_PS2_21rocsparse_index_base_SD_SD_bbb.has_indirect_call, 0
	.section	.AMDGPU.csdata,"",@progbits
; Kernel info:
; codeLenInByte = 1764
; TotalNumSgprs: 24
; NumVgprs: 44
; ScratchSize: 0
; MemoryBound: 0
; FloatMode: 240
; IeeeMode: 1
; LDSByteSize: 2304 bytes/workgroup (compile time only)
; SGPRBlocks: 0
; VGPRBlocks: 2
; NumSGPRsForWavesPerEU: 24
; NumVGPRsForWavesPerEU: 44
; NamedBarCnt: 0
; Occupancy: 16
; WaveLimiterHint : 1
; COMPUTE_PGM_RSRC2:SCRATCH_EN: 0
; COMPUTE_PGM_RSRC2:USER_SGPR: 2
; COMPUTE_PGM_RSRC2:TRAP_HANDLER: 0
; COMPUTE_PGM_RSRC2:TGID_X_EN: 1
; COMPUTE_PGM_RSRC2:TGID_Y_EN: 0
; COMPUTE_PGM_RSRC2:TGID_Z_EN: 0
; COMPUTE_PGM_RSRC2:TIDIG_COMP_CNT: 0
	.section	.text._ZN9rocsparseL37csrgeam_fill_numeric_multipass_kernelILj256ELj32Eii21rocsparse_complex_numIfEEEvllNS_24const_host_device_scalarIT3_EEPKT1_PKT2_PKS4_S5_S8_SB_SD_S8_PS4_21rocsparse_index_base_SF_SF_bbb,"axG",@progbits,_ZN9rocsparseL37csrgeam_fill_numeric_multipass_kernelILj256ELj32Eii21rocsparse_complex_numIfEEEvllNS_24const_host_device_scalarIT3_EEPKT1_PKT2_PKS4_S5_S8_SB_SD_S8_PS4_21rocsparse_index_base_SF_SF_bbb,comdat
	.globl	_ZN9rocsparseL37csrgeam_fill_numeric_multipass_kernelILj256ELj32Eii21rocsparse_complex_numIfEEEvllNS_24const_host_device_scalarIT3_EEPKT1_PKT2_PKS4_S5_S8_SB_SD_S8_PS4_21rocsparse_index_base_SF_SF_bbb ; -- Begin function _ZN9rocsparseL37csrgeam_fill_numeric_multipass_kernelILj256ELj32Eii21rocsparse_complex_numIfEEEvllNS_24const_host_device_scalarIT3_EEPKT1_PKT2_PKS4_S5_S8_SB_SD_S8_PS4_21rocsparse_index_base_SF_SF_bbb
	.p2align	8
	.type	_ZN9rocsparseL37csrgeam_fill_numeric_multipass_kernelILj256ELj32Eii21rocsparse_complex_numIfEEEvllNS_24const_host_device_scalarIT3_EEPKT1_PKT2_PKS4_S5_S8_SB_SD_S8_PS4_21rocsparse_index_base_SF_SF_bbb,@function
_ZN9rocsparseL37csrgeam_fill_numeric_multipass_kernelILj256ELj32Eii21rocsparse_complex_numIfEEEvllNS_24const_host_device_scalarIT3_EEPKT1_PKT2_PKS4_S5_S8_SB_SD_S8_PS4_21rocsparse_index_base_SF_SF_bbb: ; @_ZN9rocsparseL37csrgeam_fill_numeric_multipass_kernelILj256ELj32Eii21rocsparse_complex_numIfEEEvllNS_24const_host_device_scalarIT3_EEPKT1_PKT2_PKS4_S5_S8_SB_SD_S8_PS4_21rocsparse_index_base_SF_SF_bbb
; %bb.0:
	s_clause 0x5
	s_load_b32 s30, s[0:1], 0x6c
	s_load_b256 s[4:11], s[0:1], 0x50
	s_load_b64 s[2:3], s[0:1], 0x40
	s_load_b256 s[12:19], s[0:1], 0x0
	s_load_b64 s[24:25], s[0:1], 0x20
	s_load_b128 s[20:23], s[0:1], 0x30
	s_mov_b32 s27, 0
	s_wait_kmcnt 0x0
	s_bitcmp1_b32 s30, 16
	s_cselect_b32 s26, -1, 0
	s_delay_alu instid0(SALU_CYCLE_1) | instskip(SKIP_3) | instid1(VALU_DEP_1)
	s_xor_b32 s28, s26, -1
	s_bitcmp0_b32 s11, 0
	v_cndmask_b32_e64 v1, 0, 1, s28
	s_mov_b32 s26, s27
	v_cmp_ne_u32_e32 vcc_lo, 1, v1
	s_cbranch_scc1 .LBB12_6
; %bb.1:
	s_and_b32 vcc_lo, exec_lo, vcc_lo
	s_mov_b32 s26, s16
	s_cbranch_vccnz .LBB12_3
; %bb.2:
	s_load_b32 s26, s[16:17], 0x0
.LBB12_3:
	s_and_not1_b32 vcc_lo, exec_lo, s28
	s_cbranch_vccnz .LBB12_5
; %bb.4:
	s_wait_xcnt 0x0
	s_load_b32 s17, s[16:17], 0x4
.LBB12_5:
	s_wait_kmcnt 0x0
	s_mov_b32 s27, s17
.LBB12_6:
	s_clause 0x1
	s_load_b64 s[16:17], s[0:1], 0x48
	s_load_b64 s[28:29], s[0:1], 0x28
	s_wait_xcnt 0x0
	s_bfe_u32 s0, s30, 0x10008
	s_mov_b32 s30, 0
	s_cmp_eq_u32 s0, 0
	s_mov_b32 s31, s30
	s_cbranch_scc1 .LBB12_12
; %bb.7:
	v_cmp_ne_u32_e32 vcc_lo, 1, v1
	s_mov_b32 s30, s20
	s_cbranch_vccnz .LBB12_9
; %bb.8:
	s_load_b32 s30, s[20:21], 0x0
.LBB12_9:
	v_cmp_ne_u32_e32 vcc_lo, 1, v1
	s_cbranch_vccnz .LBB12_11
; %bb.10:
	s_wait_xcnt 0x0
	s_load_b32 s21, s[20:21], 0x4
.LBB12_11:
	s_wait_kmcnt 0x0
	s_mov_b32 s31, s21
.LBB12_12:
	s_bfe_u32 s0, ttmp6, 0x4000c
	s_and_b32 s1, ttmp6, 15
	s_add_co_i32 s0, s0, 1
	s_getreg_b32 s11, hwreg(HW_REG_IB_STS2, 6, 4)
	s_mul_i32 s0, ttmp9, s0
	v_dual_lshrrev_b32 v1, 5, v0 :: v_dual_mov_b32 v7, 0
	s_add_co_i32 s1, s1, s0
	s_cmp_eq_u32 s11, 0
	s_cselect_b32 s0, ttmp9, s1
	s_delay_alu instid0(SALU_CYCLE_1) | instskip(NEXT) | instid1(SALU_CYCLE_1)
	s_lshl_b32 s0, s0, 3
	v_and_or_b32 v6, 0x7fffff8, s0, v1
	s_mov_b32 s0, exec_lo
	s_delay_alu instid0(VALU_DEP_1)
	v_cmpx_gt_i64_e64 s[12:13], v[6:7]
	s_cbranch_execz .LBB12_43
; %bb.13:
	v_lshlrev_b32_e32 v7, 2, v6
	s_mov_b32 s0, exec_lo
	s_clause 0x1
	global_load_b64 v[4:5], v7, s[18:19]
	global_load_b64 v[2:3], v7, s[22:23]
	global_load_b32 v1, v6, s[4:5] scale_offset
	s_wait_loadcnt 0x2
	s_wait_xcnt 0x0
	v_cmpx_ge_i32_e64 v4, v5
	s_xor_b32 s0, exec_lo, s0
	s_delay_alu instid0(SALU_CYCLE_1)
	s_or_saveexec_b32 s0, s0
	v_subrev_nc_u32_e32 v4, s8, v4
	v_mov_b32_e32 v6, s14
	s_xor_b32 exec_lo, exec_lo, s0
	s_cbranch_execz .LBB12_15
; %bb.14:
	global_load_b32 v6, v4, s[24:25] scale_offset
	s_wait_loadcnt 0x0
	v_subrev_nc_u32_e32 v6, s8, v6
.LBB12_15:
	s_or_b32 exec_lo, exec_lo, s0
	v_mov_b32_e32 v8, s14
	s_mov_b32 s0, exec_lo
	s_wait_loadcnt 0x1
	v_cmpx_ge_i32_e64 v2, v3
	s_xor_b32 s0, exec_lo, s0
; %bb.16:
	v_mov_b32_e32 v8, s14
; %bb.17:
	s_or_saveexec_b32 s0, s0
	v_subrev_nc_u32_e32 v7, s9, v2
	s_delay_alu instid0(VALU_DEP_2)
	v_mov_b32_e32 v2, v8
	s_xor_b32 exec_lo, exec_lo, s0
	s_cbranch_execz .LBB12_19
; %bb.18:
	global_load_b32 v2, v7, s[2:3] scale_offset
	s_wait_loadcnt 0x0
	v_subrev_nc_u32_e32 v2, s9, v2
.LBB12_19:
	s_or_b32 exec_lo, exec_lo, s0
	s_wait_loadcnt 0x0
	v_subrev_nc_u32_e32 v13, s10, v1
	v_mbcnt_lo_u32_b32 v1, -1, 0
	v_subrev_nc_u32_e32 v9, s8, v5
	v_and_b32_e32 v12, 0xe0, v0
	v_subrev_nc_u32_e32 v10, s9, v3
	v_min_i32_e32 v6, v2, v6
	v_xor_b32_e32 v5, 16, v1
	v_xor_b32_e32 v16, 2, v1
	v_or_b32_e32 v11, 0x800, v12
	v_dual_mov_b32 v23, 1 :: v_dual_lshlrev_b32 v12, 3, v12
	s_delay_alu instid0(VALU_DEP_4) | instskip(SKIP_4) | instid1(VALU_DEP_2)
	v_cmp_gt_i32_e32 vcc_lo, 32, v5
	v_and_b32_e32 v3, 31, v0
	v_bitop3_b32 v0, v0, 31, v0 bitop3:0xc
	s_mov_b32 s1, 0
	s_xor_b32 s4, s27, 0x80000000
	v_dual_cndmask_b32 v5, v1, v5 :: v_dual_add_nc_u32 v2, v4, v3
	v_add_nc_u32_e32 v4, v7, v3
	v_lshrrev_b32_e64 v15, v0, -1
	v_xor_b32_e32 v7, 4, v1
	v_xor_b32_e32 v0, 8, v1
	v_lshl_or_b32 v14, v3, 3, v12
	s_xor_b32 s10, s31, 0x80000000
	s_mov_b32 s5, s26
	s_mov_b32 s11, s30
	v_cmp_gt_i32_e32 vcc_lo, 32, v0
	v_dual_mov_b32 v22, 0 :: v_dual_add_nc_u32 v21, v11, v3
	v_cndmask_b32_e32 v0, v1, v0, vcc_lo
	v_cmp_gt_i32_e32 vcc_lo, 32, v7
	v_dual_cndmask_b32 v7, v1, v7, vcc_lo :: v_dual_bitop2_b32 v17, 1, v1 bitop3:0x14
	v_cmp_gt_i32_e32 vcc_lo, 32, v16
	s_delay_alu instid0(VALU_DEP_2) | instskip(NEXT) | instid1(VALU_DEP_3)
	v_dual_cndmask_b32 v19, v1, v16 :: v_dual_lshlrev_b32 v18, 2, v7
	v_cmp_gt_i32_e32 vcc_lo, 32, v17
	s_delay_alu instid0(VALU_DEP_2) | instskip(SKIP_1) | instid1(VALU_DEP_1)
	v_dual_lshlrev_b32 v16, 2, v5 :: v_dual_lshlrev_b32 v19, 2, v19
	v_dual_cndmask_b32 v1, v1, v17, vcc_lo :: v_dual_lshlrev_b32 v17, 2, v0
	v_lshlrev_b32_e32 v20, 2, v1
	v_mov_b64_e32 v[0:1], 0
	s_branch .LBB12_21
.LBB12_20:                              ;   in Loop: Header=BB12_21 Depth=1
	s_wait_xcnt 0x0
	s_or_b32 exec_lo, exec_lo, s12
	ds_bpermute_b32 v3, v16, v7
	s_bcnt1_i32_b32 s12, vcc_lo
	s_wait_dscnt 0x0
	v_dual_add_nc_u32 v13, s12, v13 :: v_dual_min_i32 v3, v3, v7
	ds_bpermute_b32 v5, v17, v3
	s_wait_dscnt 0x0
	v_min_i32_e32 v3, v5, v3
	ds_bpermute_b32 v5, v18, v3
	s_wait_dscnt 0x0
	v_min_i32_e32 v3, v5, v3
	;; [unrolled: 3-line block ×4, first 2 shown]
	s_delay_alu instid0(VALU_DEP_1) | instskip(NEXT) | instid1(VALU_DEP_1)
	v_ashrrev_i32_e32 v7, 31, v6
	v_cmp_le_i64_e64 s0, s[14:15], v[6:7]
	s_or_b32 s1, s0, s1
	s_delay_alu instid0(SALU_CYCLE_1)
	s_and_not1_b32 exec_lo, exec_lo, s1
	s_cbranch_execz .LBB12_43
.LBB12_21:                              ; =>This Loop Header: Depth=1
                                        ;     Child Loop BB12_24 Depth 2
                                        ;     Child Loop BB12_34 Depth 2
	v_mov_b32_e32 v7, v8
	s_mov_b32 s12, exec_lo
	ds_store_b8 v21, v22
	ds_store_b64 v14, v[0:1]
	s_wait_dscnt 0x0
	v_cmpx_lt_i32_e64 v2, v9
	s_cbranch_execz .LBB12_31
; %bb.22:                               ;   in Loop: Header=BB12_21 Depth=1
	v_mov_b32_e32 v7, v8
	s_mov_b32 s13, 0
	s_branch .LBB12_24
.LBB12_23:                              ;   in Loop: Header=BB12_24 Depth=2
	s_or_b32 exec_lo, exec_lo, s18
	s_delay_alu instid0(SALU_CYCLE_1) | instskip(NEXT) | instid1(SALU_CYCLE_1)
	s_and_b32 s0, exec_lo, s0
	s_or_b32 s13, s0, s13
	s_delay_alu instid0(SALU_CYCLE_1)
	s_and_not1_b32 exec_lo, exec_lo, s13
	s_cbranch_execz .LBB12_30
.LBB12_24:                              ;   Parent Loop BB12_21 Depth=1
                                        ; =>  This Inner Loop Header: Depth=2
	global_load_b32 v3, v2, s[24:25] scale_offset
	s_wait_loadcnt 0x0
	v_subrev_nc_u32_e32 v3, s8, v3
	s_delay_alu instid0(VALU_DEP_1) | instskip(NEXT) | instid1(VALU_DEP_1)
	v_sub_nc_u32_e32 v5, v3, v6
	v_cmp_lt_u32_e64 s0, 31, v5
	v_cmp_gt_u32_e32 vcc_lo, 32, v5
	s_wait_xcnt 0x0
	s_and_saveexec_b32 s18, s0
	s_delay_alu instid0(SALU_CYCLE_1)
	s_xor_b32 s0, exec_lo, s18
	s_cbranch_execnz .LBB12_27
; %bb.25:                               ;   in Loop: Header=BB12_24 Depth=2
	s_and_not1_saveexec_b32 s0, s0
	s_cbranch_execnz .LBB12_28
.LBB12_26:                              ;   in Loop: Header=BB12_24 Depth=2
	s_or_b32 exec_lo, exec_lo, s0
	s_mov_b32 s0, -1
	s_and_saveexec_b32 s18, vcc_lo
	s_cbranch_execz .LBB12_23
	s_branch .LBB12_29
.LBB12_27:                              ;   in Loop: Header=BB12_24 Depth=2
	v_min_i32_e32 v7, v3, v7
                                        ; implicit-def: $vgpr5
	s_and_not1_saveexec_b32 s0, s0
	s_cbranch_execz .LBB12_26
.LBB12_28:                              ;   in Loop: Header=BB12_24 Depth=2
	v_ashrrev_i32_e32 v3, 31, v2
	v_mov_b64_e32 v[26:27], s[4:5]
	v_mov_b64_e32 v[28:29], s[26:27]
	s_wait_kmcnt 0x0
	s_delay_alu instid0(VALU_DEP_3)
	v_lshl_add_u64 v[24:25], v[2:3], 3, s[28:29]
	v_add_nc_u32_e32 v3, v11, v5
	v_lshl_add_u32 v5, v5, 3, v12
	global_load_b64 v[24:25], v[24:25], off
	s_wait_loadcnt 0x0
	v_pk_mul_f32 v[26:27], v[24:25], v[26:27] op_sel:[1,0]
	s_wait_xcnt 0x0
	s_delay_alu instid0(VALU_DEP_1)
	v_pk_fma_f32 v[24:25], v[28:29], v[24:25], v[26:27] op_sel_hi:[1,0,1]
	ds_store_b8 v3, v23
	ds_store_b64 v5, v[24:25]
	s_or_b32 exec_lo, exec_lo, s0
	s_mov_b32 s0, -1
	s_and_saveexec_b32 s18, vcc_lo
	s_cbranch_execz .LBB12_23
.LBB12_29:                              ;   in Loop: Header=BB12_24 Depth=2
	v_add_nc_u32_e32 v2, 32, v2
	s_delay_alu instid0(VALU_DEP_1)
	v_cmp_ge_i32_e32 vcc_lo, v2, v9
	s_or_not1_b32 s0, vcc_lo, exec_lo
	s_branch .LBB12_23
.LBB12_30:                              ;   in Loop: Header=BB12_21 Depth=1
	s_or_b32 exec_lo, exec_lo, s13
.LBB12_31:                              ;   in Loop: Header=BB12_21 Depth=1
	s_delay_alu instid0(SALU_CYCLE_1) | instskip(NEXT) | instid1(SALU_CYCLE_1)
	s_or_b32 exec_lo, exec_lo, s12
	s_mov_b32 s12, exec_lo
	s_wait_dscnt 0x0
	v_cmpx_lt_i32_e64 v4, v10
	s_cbranch_execz .LBB12_41
; %bb.32:                               ;   in Loop: Header=BB12_21 Depth=1
	s_mov_b32 s13, 0
	s_branch .LBB12_34
.LBB12_33:                              ;   in Loop: Header=BB12_34 Depth=2
	s_or_b32 exec_lo, exec_lo, s18
	s_delay_alu instid0(SALU_CYCLE_1) | instskip(NEXT) | instid1(SALU_CYCLE_1)
	s_and_b32 s0, exec_lo, s0
	s_or_b32 s13, s0, s13
	s_delay_alu instid0(SALU_CYCLE_1)
	s_and_not1_b32 exec_lo, exec_lo, s13
	s_cbranch_execz .LBB12_40
.LBB12_34:                              ;   Parent Loop BB12_21 Depth=1
                                        ; =>  This Inner Loop Header: Depth=2
	global_load_b32 v3, v4, s[2:3] scale_offset
	s_wait_loadcnt 0x0
	v_subrev_nc_u32_e32 v5, s9, v3
	s_delay_alu instid0(VALU_DEP_1) | instskip(NEXT) | instid1(VALU_DEP_1)
	v_sub_nc_u32_e32 v3, v5, v6
	v_cmp_lt_u32_e64 s0, 31, v3
	v_cmp_gt_u32_e32 vcc_lo, 32, v3
	s_wait_xcnt 0x0
	s_and_saveexec_b32 s18, s0
	s_delay_alu instid0(SALU_CYCLE_1)
	s_xor_b32 s0, exec_lo, s18
	s_cbranch_execnz .LBB12_37
; %bb.35:                               ;   in Loop: Header=BB12_34 Depth=2
	s_and_not1_saveexec_b32 s0, s0
	s_cbranch_execnz .LBB12_38
.LBB12_36:                              ;   in Loop: Header=BB12_34 Depth=2
	s_or_b32 exec_lo, exec_lo, s0
	s_mov_b32 s0, -1
	s_and_saveexec_b32 s18, vcc_lo
	s_cbranch_execz .LBB12_33
	s_branch .LBB12_39
.LBB12_37:                              ;   in Loop: Header=BB12_34 Depth=2
	v_min_i32_e32 v7, v5, v7
                                        ; implicit-def: $vgpr3
	s_and_not1_saveexec_b32 s0, s0
	s_cbranch_execz .LBB12_36
.LBB12_38:                              ;   in Loop: Header=BB12_34 Depth=2
	v_ashrrev_i32_e32 v5, 31, v4
	v_mov_b64_e32 v[28:29], s[30:31]
	s_wait_kmcnt 0x0
	s_delay_alu instid0(VALU_DEP_2)
	v_lshl_add_u64 v[24:25], v[4:5], 3, s[16:17]
	v_lshl_add_u32 v5, v3, 3, v12
	v_add_nc_u32_e32 v3, v11, v3
	global_load_b64 v[24:25], v[24:25], off
	ds_load_b64 v[26:27], v5
	s_wait_loadcnt_dscnt 0x0
	v_pk_fma_f32 v[26:27], v[28:29], v[24:25], v[26:27] op_sel_hi:[1,0,1]
	v_mov_b64_e32 v[28:29], s[10:11]
	s_wait_xcnt 0x0
	s_delay_alu instid0(VALU_DEP_1)
	v_pk_fma_f32 v[24:25], v[28:29], v[24:25], v[26:27] op_sel:[0,1,0]
	ds_store_b8 v3, v23
	ds_store_b64 v5, v[24:25]
	s_or_b32 exec_lo, exec_lo, s0
	s_mov_b32 s0, -1
	s_and_saveexec_b32 s18, vcc_lo
	s_cbranch_execz .LBB12_33
.LBB12_39:                              ;   in Loop: Header=BB12_34 Depth=2
	v_add_nc_u32_e32 v4, 32, v4
	s_delay_alu instid0(VALU_DEP_1)
	v_cmp_ge_i32_e32 vcc_lo, v4, v10
	s_or_not1_b32 s0, vcc_lo, exec_lo
	s_branch .LBB12_33
.LBB12_40:                              ;   in Loop: Header=BB12_21 Depth=1
	s_or_b32 exec_lo, exec_lo, s13
.LBB12_41:                              ;   in Loop: Header=BB12_21 Depth=1
	s_delay_alu instid0(SALU_CYCLE_1)
	s_or_b32 exec_lo, exec_lo, s12
	s_wait_dscnt 0x0
	ds_load_u8 v3, v21
	s_mov_b32 s12, exec_lo
	s_wait_dscnt 0x0
	v_and_b32_e32 v5, 1, v3
	v_cmp_ne_u16_e32 vcc_lo, 0, v3
	s_delay_alu instid0(VALU_DEP_2)
	v_cmpx_eq_u32_e32 1, v5
	s_cbranch_execz .LBB12_20
; %bb.42:                               ;   in Loop: Header=BB12_21 Depth=1
	ds_load_b64 v[24:25], v14
	v_and_b32_e32 v3, vcc_lo, v15
	s_delay_alu instid0(VALU_DEP_1) | instskip(NEXT) | instid1(VALU_DEP_1)
	v_bcnt_u32_b32 v3, v3, 0
	v_add3_u32 v3, v13, v3, -1
	s_wait_dscnt 0x0
	global_store_b64 v3, v[24:25], s[6:7] scale_offset
	s_branch .LBB12_20
.LBB12_43:
	s_endpgm
	.section	.rodata,"a",@progbits
	.p2align	6, 0x0
	.amdhsa_kernel _ZN9rocsparseL37csrgeam_fill_numeric_multipass_kernelILj256ELj32Eii21rocsparse_complex_numIfEEEvllNS_24const_host_device_scalarIT3_EEPKT1_PKT2_PKS4_S5_S8_SB_SD_S8_PS4_21rocsparse_index_base_SF_SF_bbb
		.amdhsa_group_segment_fixed_size 2304
		.amdhsa_private_segment_fixed_size 0
		.amdhsa_kernarg_size 112
		.amdhsa_user_sgpr_count 2
		.amdhsa_user_sgpr_dispatch_ptr 0
		.amdhsa_user_sgpr_queue_ptr 0
		.amdhsa_user_sgpr_kernarg_segment_ptr 1
		.amdhsa_user_sgpr_dispatch_id 0
		.amdhsa_user_sgpr_kernarg_preload_length 0
		.amdhsa_user_sgpr_kernarg_preload_offset 0
		.amdhsa_user_sgpr_private_segment_size 0
		.amdhsa_wavefront_size32 1
		.amdhsa_uses_dynamic_stack 0
		.amdhsa_enable_private_segment 0
		.amdhsa_system_sgpr_workgroup_id_x 1
		.amdhsa_system_sgpr_workgroup_id_y 0
		.amdhsa_system_sgpr_workgroup_id_z 0
		.amdhsa_system_sgpr_workgroup_info 0
		.amdhsa_system_vgpr_workitem_id 0
		.amdhsa_next_free_vgpr 30
		.amdhsa_next_free_sgpr 32
		.amdhsa_named_barrier_count 0
		.amdhsa_reserve_vcc 1
		.amdhsa_float_round_mode_32 0
		.amdhsa_float_round_mode_16_64 0
		.amdhsa_float_denorm_mode_32 3
		.amdhsa_float_denorm_mode_16_64 3
		.amdhsa_fp16_overflow 0
		.amdhsa_memory_ordered 1
		.amdhsa_forward_progress 1
		.amdhsa_inst_pref_size 13
		.amdhsa_round_robin_scheduling 0
		.amdhsa_exception_fp_ieee_invalid_op 0
		.amdhsa_exception_fp_denorm_src 0
		.amdhsa_exception_fp_ieee_div_zero 0
		.amdhsa_exception_fp_ieee_overflow 0
		.amdhsa_exception_fp_ieee_underflow 0
		.amdhsa_exception_fp_ieee_inexact 0
		.amdhsa_exception_int_div_zero 0
	.end_amdhsa_kernel
	.section	.text._ZN9rocsparseL37csrgeam_fill_numeric_multipass_kernelILj256ELj32Eii21rocsparse_complex_numIfEEEvllNS_24const_host_device_scalarIT3_EEPKT1_PKT2_PKS4_S5_S8_SB_SD_S8_PS4_21rocsparse_index_base_SF_SF_bbb,"axG",@progbits,_ZN9rocsparseL37csrgeam_fill_numeric_multipass_kernelILj256ELj32Eii21rocsparse_complex_numIfEEEvllNS_24const_host_device_scalarIT3_EEPKT1_PKT2_PKS4_S5_S8_SB_SD_S8_PS4_21rocsparse_index_base_SF_SF_bbb,comdat
.Lfunc_end12:
	.size	_ZN9rocsparseL37csrgeam_fill_numeric_multipass_kernelILj256ELj32Eii21rocsparse_complex_numIfEEEvllNS_24const_host_device_scalarIT3_EEPKT1_PKT2_PKS4_S5_S8_SB_SD_S8_PS4_21rocsparse_index_base_SF_SF_bbb, .Lfunc_end12-_ZN9rocsparseL37csrgeam_fill_numeric_multipass_kernelILj256ELj32Eii21rocsparse_complex_numIfEEEvllNS_24const_host_device_scalarIT3_EEPKT1_PKT2_PKS4_S5_S8_SB_SD_S8_PS4_21rocsparse_index_base_SF_SF_bbb
                                        ; -- End function
	.set _ZN9rocsparseL37csrgeam_fill_numeric_multipass_kernelILj256ELj32Eii21rocsparse_complex_numIfEEEvllNS_24const_host_device_scalarIT3_EEPKT1_PKT2_PKS4_S5_S8_SB_SD_S8_PS4_21rocsparse_index_base_SF_SF_bbb.num_vgpr, 30
	.set _ZN9rocsparseL37csrgeam_fill_numeric_multipass_kernelILj256ELj32Eii21rocsparse_complex_numIfEEEvllNS_24const_host_device_scalarIT3_EEPKT1_PKT2_PKS4_S5_S8_SB_SD_S8_PS4_21rocsparse_index_base_SF_SF_bbb.num_agpr, 0
	.set _ZN9rocsparseL37csrgeam_fill_numeric_multipass_kernelILj256ELj32Eii21rocsparse_complex_numIfEEEvllNS_24const_host_device_scalarIT3_EEPKT1_PKT2_PKS4_S5_S8_SB_SD_S8_PS4_21rocsparse_index_base_SF_SF_bbb.numbered_sgpr, 32
	.set _ZN9rocsparseL37csrgeam_fill_numeric_multipass_kernelILj256ELj32Eii21rocsparse_complex_numIfEEEvllNS_24const_host_device_scalarIT3_EEPKT1_PKT2_PKS4_S5_S8_SB_SD_S8_PS4_21rocsparse_index_base_SF_SF_bbb.num_named_barrier, 0
	.set _ZN9rocsparseL37csrgeam_fill_numeric_multipass_kernelILj256ELj32Eii21rocsparse_complex_numIfEEEvllNS_24const_host_device_scalarIT3_EEPKT1_PKT2_PKS4_S5_S8_SB_SD_S8_PS4_21rocsparse_index_base_SF_SF_bbb.private_seg_size, 0
	.set _ZN9rocsparseL37csrgeam_fill_numeric_multipass_kernelILj256ELj32Eii21rocsparse_complex_numIfEEEvllNS_24const_host_device_scalarIT3_EEPKT1_PKT2_PKS4_S5_S8_SB_SD_S8_PS4_21rocsparse_index_base_SF_SF_bbb.uses_vcc, 1
	.set _ZN9rocsparseL37csrgeam_fill_numeric_multipass_kernelILj256ELj32Eii21rocsparse_complex_numIfEEEvllNS_24const_host_device_scalarIT3_EEPKT1_PKT2_PKS4_S5_S8_SB_SD_S8_PS4_21rocsparse_index_base_SF_SF_bbb.uses_flat_scratch, 0
	.set _ZN9rocsparseL37csrgeam_fill_numeric_multipass_kernelILj256ELj32Eii21rocsparse_complex_numIfEEEvllNS_24const_host_device_scalarIT3_EEPKT1_PKT2_PKS4_S5_S8_SB_SD_S8_PS4_21rocsparse_index_base_SF_SF_bbb.has_dyn_sized_stack, 0
	.set _ZN9rocsparseL37csrgeam_fill_numeric_multipass_kernelILj256ELj32Eii21rocsparse_complex_numIfEEEvllNS_24const_host_device_scalarIT3_EEPKT1_PKT2_PKS4_S5_S8_SB_SD_S8_PS4_21rocsparse_index_base_SF_SF_bbb.has_recursion, 0
	.set _ZN9rocsparseL37csrgeam_fill_numeric_multipass_kernelILj256ELj32Eii21rocsparse_complex_numIfEEEvllNS_24const_host_device_scalarIT3_EEPKT1_PKT2_PKS4_S5_S8_SB_SD_S8_PS4_21rocsparse_index_base_SF_SF_bbb.has_indirect_call, 0
	.section	.AMDGPU.csdata,"",@progbits
; Kernel info:
; codeLenInByte = 1620
; TotalNumSgprs: 34
; NumVgprs: 30
; ScratchSize: 0
; MemoryBound: 0
; FloatMode: 240
; IeeeMode: 1
; LDSByteSize: 2304 bytes/workgroup (compile time only)
; SGPRBlocks: 0
; VGPRBlocks: 1
; NumSGPRsForWavesPerEU: 34
; NumVGPRsForWavesPerEU: 30
; NamedBarCnt: 0
; Occupancy: 16
; WaveLimiterHint : 1
; COMPUTE_PGM_RSRC2:SCRATCH_EN: 0
; COMPUTE_PGM_RSRC2:USER_SGPR: 2
; COMPUTE_PGM_RSRC2:TRAP_HANDLER: 0
; COMPUTE_PGM_RSRC2:TGID_X_EN: 1
; COMPUTE_PGM_RSRC2:TGID_Y_EN: 0
; COMPUTE_PGM_RSRC2:TGID_Z_EN: 0
; COMPUTE_PGM_RSRC2:TIDIG_COMP_CNT: 0
	.section	.text._ZN9rocsparseL37csrgeam_fill_numeric_multipass_kernelILj256ELj64Eii21rocsparse_complex_numIfEEEvllNS_24const_host_device_scalarIT3_EEPKT1_PKT2_PKS4_S5_S8_SB_SD_S8_PS4_21rocsparse_index_base_SF_SF_bbb,"axG",@progbits,_ZN9rocsparseL37csrgeam_fill_numeric_multipass_kernelILj256ELj64Eii21rocsparse_complex_numIfEEEvllNS_24const_host_device_scalarIT3_EEPKT1_PKT2_PKS4_S5_S8_SB_SD_S8_PS4_21rocsparse_index_base_SF_SF_bbb,comdat
	.globl	_ZN9rocsparseL37csrgeam_fill_numeric_multipass_kernelILj256ELj64Eii21rocsparse_complex_numIfEEEvllNS_24const_host_device_scalarIT3_EEPKT1_PKT2_PKS4_S5_S8_SB_SD_S8_PS4_21rocsparse_index_base_SF_SF_bbb ; -- Begin function _ZN9rocsparseL37csrgeam_fill_numeric_multipass_kernelILj256ELj64Eii21rocsparse_complex_numIfEEEvllNS_24const_host_device_scalarIT3_EEPKT1_PKT2_PKS4_S5_S8_SB_SD_S8_PS4_21rocsparse_index_base_SF_SF_bbb
	.p2align	8
	.type	_ZN9rocsparseL37csrgeam_fill_numeric_multipass_kernelILj256ELj64Eii21rocsparse_complex_numIfEEEvllNS_24const_host_device_scalarIT3_EEPKT1_PKT2_PKS4_S5_S8_SB_SD_S8_PS4_21rocsparse_index_base_SF_SF_bbb,@function
_ZN9rocsparseL37csrgeam_fill_numeric_multipass_kernelILj256ELj64Eii21rocsparse_complex_numIfEEEvllNS_24const_host_device_scalarIT3_EEPKT1_PKT2_PKS4_S5_S8_SB_SD_S8_PS4_21rocsparse_index_base_SF_SF_bbb: ; @_ZN9rocsparseL37csrgeam_fill_numeric_multipass_kernelILj256ELj64Eii21rocsparse_complex_numIfEEEvllNS_24const_host_device_scalarIT3_EEPKT1_PKT2_PKS4_S5_S8_SB_SD_S8_PS4_21rocsparse_index_base_SF_SF_bbb
; %bb.0:
	s_clause 0x5
	s_load_b32 s30, s[0:1], 0x6c
	s_load_b256 s[4:11], s[0:1], 0x50
	s_load_b64 s[2:3], s[0:1], 0x40
	s_load_b256 s[12:19], s[0:1], 0x0
	s_load_b64 s[24:25], s[0:1], 0x20
	s_load_b128 s[20:23], s[0:1], 0x30
	s_mov_b32 s27, 0
	s_wait_kmcnt 0x0
	s_bitcmp1_b32 s30, 16
	s_cselect_b32 s26, -1, 0
	s_delay_alu instid0(SALU_CYCLE_1) | instskip(SKIP_3) | instid1(VALU_DEP_1)
	s_xor_b32 s28, s26, -1
	s_bitcmp0_b32 s11, 0
	v_cndmask_b32_e64 v1, 0, 1, s28
	s_mov_b32 s26, s27
	v_cmp_ne_u32_e32 vcc_lo, 1, v1
	s_cbranch_scc1 .LBB13_6
; %bb.1:
	s_and_b32 vcc_lo, exec_lo, vcc_lo
	s_mov_b32 s26, s16
	s_cbranch_vccnz .LBB13_3
; %bb.2:
	s_load_b32 s26, s[16:17], 0x0
.LBB13_3:
	s_and_not1_b32 vcc_lo, exec_lo, s28
	s_cbranch_vccnz .LBB13_5
; %bb.4:
	s_wait_xcnt 0x0
	s_load_b32 s17, s[16:17], 0x4
.LBB13_5:
	s_wait_kmcnt 0x0
	s_mov_b32 s27, s17
.LBB13_6:
	s_clause 0x1
	s_load_b64 s[16:17], s[0:1], 0x48
	s_load_b64 s[28:29], s[0:1], 0x28
	s_wait_xcnt 0x0
	s_bfe_u32 s0, s30, 0x10008
	s_mov_b32 s30, 0
	s_cmp_eq_u32 s0, 0
	s_mov_b32 s31, s30
	s_cbranch_scc1 .LBB13_12
; %bb.7:
	v_cmp_ne_u32_e32 vcc_lo, 1, v1
	s_mov_b32 s30, s20
	s_cbranch_vccnz .LBB13_9
; %bb.8:
	s_load_b32 s30, s[20:21], 0x0
.LBB13_9:
	v_cmp_ne_u32_e32 vcc_lo, 1, v1
	s_cbranch_vccnz .LBB13_11
; %bb.10:
	s_wait_xcnt 0x0
	s_load_b32 s21, s[20:21], 0x4
.LBB13_11:
	s_wait_kmcnt 0x0
	s_mov_b32 s31, s21
.LBB13_12:
	s_bfe_u32 s0, ttmp6, 0x4000c
	s_and_b32 s1, ttmp6, 15
	s_add_co_i32 s0, s0, 1
	s_getreg_b32 s11, hwreg(HW_REG_IB_STS2, 6, 4)
	s_mul_i32 s0, ttmp9, s0
	v_dual_lshrrev_b32 v1, 6, v0 :: v_dual_mov_b32 v7, 0
	s_add_co_i32 s1, s1, s0
	s_cmp_eq_u32 s11, 0
	s_cselect_b32 s0, ttmp9, s1
	s_delay_alu instid0(SALU_CYCLE_1) | instskip(NEXT) | instid1(SALU_CYCLE_1)
	s_lshl_b32 s0, s0, 2
	v_and_or_b32 v6, 0x3fffffc, s0, v1
	s_mov_b32 s0, exec_lo
	s_delay_alu instid0(VALU_DEP_1)
	v_cmpx_gt_i64_e64 s[12:13], v[6:7]
	s_cbranch_execz .LBB13_43
; %bb.13:
	v_lshlrev_b32_e32 v7, 2, v6
	s_mov_b32 s0, exec_lo
	s_clause 0x1
	global_load_b64 v[4:5], v7, s[18:19]
	global_load_b64 v[2:3], v7, s[22:23]
	global_load_b32 v1, v6, s[4:5] scale_offset
	s_wait_loadcnt 0x2
	s_wait_xcnt 0x0
	v_cmpx_ge_i32_e64 v4, v5
	s_xor_b32 s0, exec_lo, s0
	s_delay_alu instid0(SALU_CYCLE_1)
	s_or_saveexec_b32 s0, s0
	v_subrev_nc_u32_e32 v4, s8, v4
	v_mov_b32_e32 v6, s14
	s_xor_b32 exec_lo, exec_lo, s0
	s_cbranch_execz .LBB13_15
; %bb.14:
	global_load_b32 v6, v4, s[24:25] scale_offset
	s_wait_loadcnt 0x0
	v_subrev_nc_u32_e32 v6, s8, v6
.LBB13_15:
	s_or_b32 exec_lo, exec_lo, s0
	v_mov_b32_e32 v10, s14
	s_mov_b32 s0, exec_lo
	s_wait_loadcnt 0x1
	v_cmpx_ge_i32_e64 v2, v3
	s_xor_b32 s0, exec_lo, s0
; %bb.16:
	v_mov_b32_e32 v10, s14
; %bb.17:
	s_or_saveexec_b32 s0, s0
	v_subrev_nc_u32_e32 v7, s9, v2
	s_delay_alu instid0(VALU_DEP_2)
	v_mov_b32_e32 v2, v10
	s_xor_b32 exec_lo, exec_lo, s0
	s_cbranch_execz .LBB13_19
; %bb.18:
	global_load_b32 v2, v7, s[2:3] scale_offset
	s_wait_loadcnt 0x0
	v_subrev_nc_u32_e32 v2, s9, v2
.LBB13_19:
	s_or_b32 exec_lo, exec_lo, s0
	v_mbcnt_lo_u32_b32 v9, -1, 0
	s_wait_loadcnt 0x0
	v_subrev_nc_u32_e32 v15, s10, v1
	v_and_b32_e32 v8, 0xc0, v0
	v_subrev_nc_u32_e32 v11, s8, v5
	v_subrev_nc_u32_e32 v14, s9, v3
	v_or_b32_e32 v1, 32, v9
	s_delay_alu instid0(VALU_DEP_4) | instskip(SKIP_2) | instid1(VALU_DEP_4)
	v_dual_lshlrev_b32 v13, 3, v8 :: v_dual_min_i32 v6, v2, v6
	v_or_b32_e32 v12, 0x800, v8
	v_xor_b32_e32 v8, 4, v9
	v_cmp_gt_i32_e32 vcc_lo, 32, v1
	v_and_b32_e32 v5, 63, v0
	v_bitop3_b32 v0, v0, 63, v0 bitop3:0xc
	v_dual_mov_b32 v23, 0 :: v_dual_mov_b32 v24, 1
	v_cndmask_b32_e32 v3, v9, v1, vcc_lo
	s_delay_alu instid0(VALU_DEP_4) | instskip(SKIP_2) | instid1(VALU_DEP_4)
	v_dual_add_nc_u32 v2, v4, v5 :: v_dual_add_nc_u32 v4, v7, v5
	v_xor_b32_e32 v7, 16, v9
	v_lshrrev_b64 v[0:1], v0, -1
	v_dual_lshlrev_b32 v1, 2, v3 :: v_dual_bitop2_b32 v3, 8, v9 bitop3:0x14
	v_lshl_or_b32 v16, v5, 3, v13
	s_delay_alu instid0(VALU_DEP_4)
	v_cmp_gt_i32_e32 vcc_lo, 32, v7
	s_mov_b32 s1, 0
	s_xor_b32 s4, s27, 0x80000000
	s_xor_b32 s10, s31, 0x80000000
	s_mov_b32 s5, s26
	v_cndmask_b32_e32 v7, v9, v7, vcc_lo
	v_cmp_gt_i32_e32 vcc_lo, 32, v3
	v_xor_b32_e32 v18, 1, v9
	v_xor_b32_e32 v17, 2, v9
	s_mov_b32 s11, s30
	v_dual_cndmask_b32 v3, v9, v3 :: v_dual_add_nc_u32 v22, v12, v5
	v_cmp_gt_i32_e32 vcc_lo, 32, v8
	v_cndmask_b32_e32 v8, v9, v8, vcc_lo
	v_cmp_gt_i32_e32 vcc_lo, 32, v17
	v_dual_cndmask_b32 v20, v9, v17 :: v_dual_lshlrev_b32 v17, 2, v7
	v_cmp_gt_i32_e32 vcc_lo, 32, v18
	s_delay_alu instid0(VALU_DEP_4) | instskip(NEXT) | instid1(VALU_DEP_3)
	v_dual_cndmask_b32 v9, v9, v18, vcc_lo :: v_dual_lshlrev_b32 v19, 2, v8
	v_dual_lshlrev_b32 v18, 2, v3 :: v_dual_lshlrev_b32 v20, 2, v20
	s_delay_alu instid0(VALU_DEP_2)
	v_lshlrev_b32_e32 v21, 2, v9
	v_mov_b64_e32 v[8:9], 0
	s_branch .LBB13_21
.LBB13_20:                              ;   in Loop: Header=BB13_21 Depth=1
	s_wait_xcnt 0x0
	s_or_b32 exec_lo, exec_lo, s12
	ds_bpermute_b32 v3, v1, v7
	s_bcnt1_i32_b32 s12, vcc_lo
	s_delay_alu instid0(SALU_CYCLE_1)
	v_add_nc_u32_e32 v15, s12, v15
	s_wait_dscnt 0x0
	v_min_i32_e32 v3, v3, v7
	ds_bpermute_b32 v5, v17, v3
	s_wait_dscnt 0x0
	v_min_i32_e32 v3, v5, v3
	ds_bpermute_b32 v5, v18, v3
	s_wait_dscnt 0x0
	v_min_i32_e32 v3, v5, v3
	ds_bpermute_b32 v5, v19, v3
	s_wait_dscnt 0x0
	v_min_i32_e32 v3, v5, v3
	ds_bpermute_b32 v5, v20, v3
	s_wait_dscnt 0x0
	v_min_i32_e32 v3, v5, v3
	ds_bpermute_b32 v5, v21, v3
	s_wait_dscnt 0x0
	v_min_i32_e32 v6, v5, v3
	s_delay_alu instid0(VALU_DEP_1) | instskip(NEXT) | instid1(VALU_DEP_1)
	v_ashrrev_i32_e32 v7, 31, v6
	v_cmp_le_i64_e64 s0, s[14:15], v[6:7]
	s_or_b32 s1, s0, s1
	s_delay_alu instid0(SALU_CYCLE_1)
	s_and_not1_b32 exec_lo, exec_lo, s1
	s_cbranch_execz .LBB13_43
.LBB13_21:                              ; =>This Loop Header: Depth=1
                                        ;     Child Loop BB13_24 Depth 2
                                        ;     Child Loop BB13_34 Depth 2
	v_mov_b32_e32 v7, v10
	s_mov_b32 s12, exec_lo
	ds_store_b8 v22, v23
	ds_store_b64 v16, v[8:9]
	s_wait_dscnt 0x0
	v_cmpx_lt_i32_e64 v2, v11
	s_cbranch_execz .LBB13_31
; %bb.22:                               ;   in Loop: Header=BB13_21 Depth=1
	v_mov_b32_e32 v7, v10
	s_mov_b32 s13, 0
	s_branch .LBB13_24
.LBB13_23:                              ;   in Loop: Header=BB13_24 Depth=2
	s_or_b32 exec_lo, exec_lo, s18
	s_delay_alu instid0(SALU_CYCLE_1) | instskip(NEXT) | instid1(SALU_CYCLE_1)
	s_and_b32 s0, exec_lo, s0
	s_or_b32 s13, s0, s13
	s_delay_alu instid0(SALU_CYCLE_1)
	s_and_not1_b32 exec_lo, exec_lo, s13
	s_cbranch_execz .LBB13_30
.LBB13_24:                              ;   Parent Loop BB13_21 Depth=1
                                        ; =>  This Inner Loop Header: Depth=2
	global_load_b32 v3, v2, s[24:25] scale_offset
	s_wait_loadcnt 0x0
	v_subrev_nc_u32_e32 v3, s8, v3
	s_delay_alu instid0(VALU_DEP_1) | instskip(NEXT) | instid1(VALU_DEP_1)
	v_sub_nc_u32_e32 v5, v3, v6
	v_cmp_lt_u32_e64 s0, 63, v5
	v_cmp_gt_u32_e32 vcc_lo, 64, v5
	s_wait_xcnt 0x0
	s_and_saveexec_b32 s18, s0
	s_delay_alu instid0(SALU_CYCLE_1)
	s_xor_b32 s0, exec_lo, s18
	s_cbranch_execnz .LBB13_27
; %bb.25:                               ;   in Loop: Header=BB13_24 Depth=2
	s_and_not1_saveexec_b32 s0, s0
	s_cbranch_execnz .LBB13_28
.LBB13_26:                              ;   in Loop: Header=BB13_24 Depth=2
	s_or_b32 exec_lo, exec_lo, s0
	s_mov_b32 s0, -1
	s_and_saveexec_b32 s18, vcc_lo
	s_cbranch_execz .LBB13_23
	s_branch .LBB13_29
.LBB13_27:                              ;   in Loop: Header=BB13_24 Depth=2
	v_min_i32_e32 v7, v3, v7
                                        ; implicit-def: $vgpr5
	s_and_not1_saveexec_b32 s0, s0
	s_cbranch_execz .LBB13_26
.LBB13_28:                              ;   in Loop: Header=BB13_24 Depth=2
	v_ashrrev_i32_e32 v3, 31, v2
	v_mov_b64_e32 v[28:29], s[4:5]
	v_mov_b64_e32 v[30:31], s[26:27]
	s_wait_kmcnt 0x0
	s_delay_alu instid0(VALU_DEP_3)
	v_lshl_add_u64 v[26:27], v[2:3], 3, s[28:29]
	v_add_nc_u32_e32 v3, v12, v5
	v_lshl_add_u32 v5, v5, 3, v13
	global_load_b64 v[26:27], v[26:27], off
	s_wait_loadcnt 0x0
	v_pk_mul_f32 v[28:29], v[26:27], v[28:29] op_sel:[1,0]
	s_wait_xcnt 0x0
	s_delay_alu instid0(VALU_DEP_1)
	v_pk_fma_f32 v[26:27], v[30:31], v[26:27], v[28:29] op_sel_hi:[1,0,1]
	ds_store_b8 v3, v24
	ds_store_b64 v5, v[26:27]
	s_or_b32 exec_lo, exec_lo, s0
	s_mov_b32 s0, -1
	s_and_saveexec_b32 s18, vcc_lo
	s_cbranch_execz .LBB13_23
.LBB13_29:                              ;   in Loop: Header=BB13_24 Depth=2
	v_add_nc_u32_e32 v2, 64, v2
	s_delay_alu instid0(VALU_DEP_1)
	v_cmp_ge_i32_e32 vcc_lo, v2, v11
	s_or_not1_b32 s0, vcc_lo, exec_lo
	s_branch .LBB13_23
.LBB13_30:                              ;   in Loop: Header=BB13_21 Depth=1
	s_or_b32 exec_lo, exec_lo, s13
.LBB13_31:                              ;   in Loop: Header=BB13_21 Depth=1
	s_delay_alu instid0(SALU_CYCLE_1) | instskip(NEXT) | instid1(SALU_CYCLE_1)
	s_or_b32 exec_lo, exec_lo, s12
	s_mov_b32 s12, exec_lo
	s_wait_dscnt 0x0
	v_cmpx_lt_i32_e64 v4, v14
	s_cbranch_execz .LBB13_41
; %bb.32:                               ;   in Loop: Header=BB13_21 Depth=1
	s_mov_b32 s13, 0
	s_branch .LBB13_34
.LBB13_33:                              ;   in Loop: Header=BB13_34 Depth=2
	s_or_b32 exec_lo, exec_lo, s18
	s_delay_alu instid0(SALU_CYCLE_1) | instskip(NEXT) | instid1(SALU_CYCLE_1)
	s_and_b32 s0, exec_lo, s0
	s_or_b32 s13, s0, s13
	s_delay_alu instid0(SALU_CYCLE_1)
	s_and_not1_b32 exec_lo, exec_lo, s13
	s_cbranch_execz .LBB13_40
.LBB13_34:                              ;   Parent Loop BB13_21 Depth=1
                                        ; =>  This Inner Loop Header: Depth=2
	global_load_b32 v3, v4, s[2:3] scale_offset
	s_wait_loadcnt 0x0
	v_subrev_nc_u32_e32 v5, s9, v3
	s_delay_alu instid0(VALU_DEP_1) | instskip(NEXT) | instid1(VALU_DEP_1)
	v_sub_nc_u32_e32 v3, v5, v6
	v_cmp_lt_u32_e64 s0, 63, v3
	v_cmp_gt_u32_e32 vcc_lo, 64, v3
	s_wait_xcnt 0x0
	s_and_saveexec_b32 s18, s0
	s_delay_alu instid0(SALU_CYCLE_1)
	s_xor_b32 s0, exec_lo, s18
	s_cbranch_execnz .LBB13_37
; %bb.35:                               ;   in Loop: Header=BB13_34 Depth=2
	s_and_not1_saveexec_b32 s0, s0
	s_cbranch_execnz .LBB13_38
.LBB13_36:                              ;   in Loop: Header=BB13_34 Depth=2
	s_or_b32 exec_lo, exec_lo, s0
	s_mov_b32 s0, -1
	s_and_saveexec_b32 s18, vcc_lo
	s_cbranch_execz .LBB13_33
	s_branch .LBB13_39
.LBB13_37:                              ;   in Loop: Header=BB13_34 Depth=2
	v_min_i32_e32 v7, v5, v7
                                        ; implicit-def: $vgpr3
	s_and_not1_saveexec_b32 s0, s0
	s_cbranch_execz .LBB13_36
.LBB13_38:                              ;   in Loop: Header=BB13_34 Depth=2
	v_ashrrev_i32_e32 v5, 31, v4
	v_mov_b64_e32 v[30:31], s[30:31]
	s_wait_kmcnt 0x0
	s_delay_alu instid0(VALU_DEP_2)
	v_lshl_add_u64 v[26:27], v[4:5], 3, s[16:17]
	v_lshl_add_u32 v5, v3, 3, v13
	v_add_nc_u32_e32 v3, v12, v3
	global_load_b64 v[26:27], v[26:27], off
	ds_load_b64 v[28:29], v5
	s_wait_loadcnt_dscnt 0x0
	v_pk_fma_f32 v[28:29], v[30:31], v[26:27], v[28:29] op_sel_hi:[1,0,1]
	v_mov_b64_e32 v[30:31], s[10:11]
	s_wait_xcnt 0x0
	s_delay_alu instid0(VALU_DEP_1)
	v_pk_fma_f32 v[26:27], v[30:31], v[26:27], v[28:29] op_sel:[0,1,0]
	ds_store_b8 v3, v24
	ds_store_b64 v5, v[26:27]
	s_or_b32 exec_lo, exec_lo, s0
	s_mov_b32 s0, -1
	s_and_saveexec_b32 s18, vcc_lo
	s_cbranch_execz .LBB13_33
.LBB13_39:                              ;   in Loop: Header=BB13_34 Depth=2
	v_add_nc_u32_e32 v4, 64, v4
	s_delay_alu instid0(VALU_DEP_1)
	v_cmp_ge_i32_e32 vcc_lo, v4, v14
	s_or_not1_b32 s0, vcc_lo, exec_lo
	s_branch .LBB13_33
.LBB13_40:                              ;   in Loop: Header=BB13_21 Depth=1
	s_or_b32 exec_lo, exec_lo, s13
.LBB13_41:                              ;   in Loop: Header=BB13_21 Depth=1
	s_delay_alu instid0(SALU_CYCLE_1)
	s_or_b32 exec_lo, exec_lo, s12
	s_wait_dscnt 0x0
	ds_load_u8 v3, v22
	s_mov_b32 s12, exec_lo
	s_wait_dscnt 0x0
	v_and_b32_e32 v5, 1, v3
	v_cmp_ne_u16_e32 vcc_lo, 0, v3
	s_delay_alu instid0(VALU_DEP_2)
	v_cmpx_eq_u32_e32 1, v5
	s_cbranch_execz .LBB13_20
; %bb.42:                               ;   in Loop: Header=BB13_21 Depth=1
	ds_load_b64 v[26:27], v16
	v_and_b32_e32 v3, vcc_lo, v0
	s_delay_alu instid0(VALU_DEP_1) | instskip(NEXT) | instid1(VALU_DEP_1)
	v_bcnt_u32_b32 v3, v3, 0
	v_add3_u32 v3, v15, v3, -1
	s_wait_dscnt 0x0
	global_store_b64 v3, v[26:27], s[6:7] scale_offset
	s_branch .LBB13_20
.LBB13_43:
	s_endpgm
	.section	.rodata,"a",@progbits
	.p2align	6, 0x0
	.amdhsa_kernel _ZN9rocsparseL37csrgeam_fill_numeric_multipass_kernelILj256ELj64Eii21rocsparse_complex_numIfEEEvllNS_24const_host_device_scalarIT3_EEPKT1_PKT2_PKS4_S5_S8_SB_SD_S8_PS4_21rocsparse_index_base_SF_SF_bbb
		.amdhsa_group_segment_fixed_size 2304
		.amdhsa_private_segment_fixed_size 0
		.amdhsa_kernarg_size 112
		.amdhsa_user_sgpr_count 2
		.amdhsa_user_sgpr_dispatch_ptr 0
		.amdhsa_user_sgpr_queue_ptr 0
		.amdhsa_user_sgpr_kernarg_segment_ptr 1
		.amdhsa_user_sgpr_dispatch_id 0
		.amdhsa_user_sgpr_kernarg_preload_length 0
		.amdhsa_user_sgpr_kernarg_preload_offset 0
		.amdhsa_user_sgpr_private_segment_size 0
		.amdhsa_wavefront_size32 1
		.amdhsa_uses_dynamic_stack 0
		.amdhsa_enable_private_segment 0
		.amdhsa_system_sgpr_workgroup_id_x 1
		.amdhsa_system_sgpr_workgroup_id_y 0
		.amdhsa_system_sgpr_workgroup_id_z 0
		.amdhsa_system_sgpr_workgroup_info 0
		.amdhsa_system_vgpr_workitem_id 0
		.amdhsa_next_free_vgpr 32
		.amdhsa_next_free_sgpr 32
		.amdhsa_named_barrier_count 0
		.amdhsa_reserve_vcc 1
		.amdhsa_float_round_mode_32 0
		.amdhsa_float_round_mode_16_64 0
		.amdhsa_float_denorm_mode_32 3
		.amdhsa_float_denorm_mode_16_64 3
		.amdhsa_fp16_overflow 0
		.amdhsa_memory_ordered 1
		.amdhsa_forward_progress 1
		.amdhsa_inst_pref_size 14
		.amdhsa_round_robin_scheduling 0
		.amdhsa_exception_fp_ieee_invalid_op 0
		.amdhsa_exception_fp_denorm_src 0
		.amdhsa_exception_fp_ieee_div_zero 0
		.amdhsa_exception_fp_ieee_overflow 0
		.amdhsa_exception_fp_ieee_underflow 0
		.amdhsa_exception_fp_ieee_inexact 0
		.amdhsa_exception_int_div_zero 0
	.end_amdhsa_kernel
	.section	.text._ZN9rocsparseL37csrgeam_fill_numeric_multipass_kernelILj256ELj64Eii21rocsparse_complex_numIfEEEvllNS_24const_host_device_scalarIT3_EEPKT1_PKT2_PKS4_S5_S8_SB_SD_S8_PS4_21rocsparse_index_base_SF_SF_bbb,"axG",@progbits,_ZN9rocsparseL37csrgeam_fill_numeric_multipass_kernelILj256ELj64Eii21rocsparse_complex_numIfEEEvllNS_24const_host_device_scalarIT3_EEPKT1_PKT2_PKS4_S5_S8_SB_SD_S8_PS4_21rocsparse_index_base_SF_SF_bbb,comdat
.Lfunc_end13:
	.size	_ZN9rocsparseL37csrgeam_fill_numeric_multipass_kernelILj256ELj64Eii21rocsparse_complex_numIfEEEvllNS_24const_host_device_scalarIT3_EEPKT1_PKT2_PKS4_S5_S8_SB_SD_S8_PS4_21rocsparse_index_base_SF_SF_bbb, .Lfunc_end13-_ZN9rocsparseL37csrgeam_fill_numeric_multipass_kernelILj256ELj64Eii21rocsparse_complex_numIfEEEvllNS_24const_host_device_scalarIT3_EEPKT1_PKT2_PKS4_S5_S8_SB_SD_S8_PS4_21rocsparse_index_base_SF_SF_bbb
                                        ; -- End function
	.set _ZN9rocsparseL37csrgeam_fill_numeric_multipass_kernelILj256ELj64Eii21rocsparse_complex_numIfEEEvllNS_24const_host_device_scalarIT3_EEPKT1_PKT2_PKS4_S5_S8_SB_SD_S8_PS4_21rocsparse_index_base_SF_SF_bbb.num_vgpr, 32
	.set _ZN9rocsparseL37csrgeam_fill_numeric_multipass_kernelILj256ELj64Eii21rocsparse_complex_numIfEEEvllNS_24const_host_device_scalarIT3_EEPKT1_PKT2_PKS4_S5_S8_SB_SD_S8_PS4_21rocsparse_index_base_SF_SF_bbb.num_agpr, 0
	.set _ZN9rocsparseL37csrgeam_fill_numeric_multipass_kernelILj256ELj64Eii21rocsparse_complex_numIfEEEvllNS_24const_host_device_scalarIT3_EEPKT1_PKT2_PKS4_S5_S8_SB_SD_S8_PS4_21rocsparse_index_base_SF_SF_bbb.numbered_sgpr, 32
	.set _ZN9rocsparseL37csrgeam_fill_numeric_multipass_kernelILj256ELj64Eii21rocsparse_complex_numIfEEEvllNS_24const_host_device_scalarIT3_EEPKT1_PKT2_PKS4_S5_S8_SB_SD_S8_PS4_21rocsparse_index_base_SF_SF_bbb.num_named_barrier, 0
	.set _ZN9rocsparseL37csrgeam_fill_numeric_multipass_kernelILj256ELj64Eii21rocsparse_complex_numIfEEEvllNS_24const_host_device_scalarIT3_EEPKT1_PKT2_PKS4_S5_S8_SB_SD_S8_PS4_21rocsparse_index_base_SF_SF_bbb.private_seg_size, 0
	.set _ZN9rocsparseL37csrgeam_fill_numeric_multipass_kernelILj256ELj64Eii21rocsparse_complex_numIfEEEvllNS_24const_host_device_scalarIT3_EEPKT1_PKT2_PKS4_S5_S8_SB_SD_S8_PS4_21rocsparse_index_base_SF_SF_bbb.uses_vcc, 1
	.set _ZN9rocsparseL37csrgeam_fill_numeric_multipass_kernelILj256ELj64Eii21rocsparse_complex_numIfEEEvllNS_24const_host_device_scalarIT3_EEPKT1_PKT2_PKS4_S5_S8_SB_SD_S8_PS4_21rocsparse_index_base_SF_SF_bbb.uses_flat_scratch, 0
	.set _ZN9rocsparseL37csrgeam_fill_numeric_multipass_kernelILj256ELj64Eii21rocsparse_complex_numIfEEEvllNS_24const_host_device_scalarIT3_EEPKT1_PKT2_PKS4_S5_S8_SB_SD_S8_PS4_21rocsparse_index_base_SF_SF_bbb.has_dyn_sized_stack, 0
	.set _ZN9rocsparseL37csrgeam_fill_numeric_multipass_kernelILj256ELj64Eii21rocsparse_complex_numIfEEEvllNS_24const_host_device_scalarIT3_EEPKT1_PKT2_PKS4_S5_S8_SB_SD_S8_PS4_21rocsparse_index_base_SF_SF_bbb.has_recursion, 0
	.set _ZN9rocsparseL37csrgeam_fill_numeric_multipass_kernelILj256ELj64Eii21rocsparse_complex_numIfEEEvllNS_24const_host_device_scalarIT3_EEPKT1_PKT2_PKS4_S5_S8_SB_SD_S8_PS4_21rocsparse_index_base_SF_SF_bbb.has_indirect_call, 0
	.section	.AMDGPU.csdata,"",@progbits
; Kernel info:
; codeLenInByte = 1668
; TotalNumSgprs: 34
; NumVgprs: 32
; ScratchSize: 0
; MemoryBound: 0
; FloatMode: 240
; IeeeMode: 1
; LDSByteSize: 2304 bytes/workgroup (compile time only)
; SGPRBlocks: 0
; VGPRBlocks: 1
; NumSGPRsForWavesPerEU: 34
; NumVGPRsForWavesPerEU: 32
; NamedBarCnt: 0
; Occupancy: 16
; WaveLimiterHint : 1
; COMPUTE_PGM_RSRC2:SCRATCH_EN: 0
; COMPUTE_PGM_RSRC2:USER_SGPR: 2
; COMPUTE_PGM_RSRC2:TRAP_HANDLER: 0
; COMPUTE_PGM_RSRC2:TGID_X_EN: 1
; COMPUTE_PGM_RSRC2:TGID_Y_EN: 0
; COMPUTE_PGM_RSRC2:TGID_Z_EN: 0
; COMPUTE_PGM_RSRC2:TIDIG_COMP_CNT: 0
	.section	.text._ZN9rocsparseL37csrgeam_fill_numeric_multipass_kernelILj256ELj32Eli21rocsparse_complex_numIfEEEvllNS_24const_host_device_scalarIT3_EEPKT1_PKT2_PKS4_S5_S8_SB_SD_S8_PS4_21rocsparse_index_base_SF_SF_bbb,"axG",@progbits,_ZN9rocsparseL37csrgeam_fill_numeric_multipass_kernelILj256ELj32Eli21rocsparse_complex_numIfEEEvllNS_24const_host_device_scalarIT3_EEPKT1_PKT2_PKS4_S5_S8_SB_SD_S8_PS4_21rocsparse_index_base_SF_SF_bbb,comdat
	.globl	_ZN9rocsparseL37csrgeam_fill_numeric_multipass_kernelILj256ELj32Eli21rocsparse_complex_numIfEEEvllNS_24const_host_device_scalarIT3_EEPKT1_PKT2_PKS4_S5_S8_SB_SD_S8_PS4_21rocsparse_index_base_SF_SF_bbb ; -- Begin function _ZN9rocsparseL37csrgeam_fill_numeric_multipass_kernelILj256ELj32Eli21rocsparse_complex_numIfEEEvllNS_24const_host_device_scalarIT3_EEPKT1_PKT2_PKS4_S5_S8_SB_SD_S8_PS4_21rocsparse_index_base_SF_SF_bbb
	.p2align	8
	.type	_ZN9rocsparseL37csrgeam_fill_numeric_multipass_kernelILj256ELj32Eli21rocsparse_complex_numIfEEEvllNS_24const_host_device_scalarIT3_EEPKT1_PKT2_PKS4_S5_S8_SB_SD_S8_PS4_21rocsparse_index_base_SF_SF_bbb,@function
_ZN9rocsparseL37csrgeam_fill_numeric_multipass_kernelILj256ELj32Eli21rocsparse_complex_numIfEEEvllNS_24const_host_device_scalarIT3_EEPKT1_PKT2_PKS4_S5_S8_SB_SD_S8_PS4_21rocsparse_index_base_SF_SF_bbb: ; @_ZN9rocsparseL37csrgeam_fill_numeric_multipass_kernelILj256ELj32Eli21rocsparse_complex_numIfEEEvllNS_24const_host_device_scalarIT3_EEPKT1_PKT2_PKS4_S5_S8_SB_SD_S8_PS4_21rocsparse_index_base_SF_SF_bbb
; %bb.0:
	s_clause 0x4
	s_load_b32 s28, s[0:1], 0x6c
	s_load_b128 s[12:15], s[0:1], 0x60
	s_load_b256 s[4:11], s[0:1], 0x0
	s_load_b64 s[30:31], s[0:1], 0x50
	s_load_b128 s[24:27], s[0:1], 0x30
	s_mov_b32 s3, 0
	s_wait_kmcnt 0x0
	s_bitcmp1_b32 s28, 16
	s_cselect_b32 s2, -1, 0
	s_delay_alu instid0(SALU_CYCLE_1) | instskip(SKIP_3) | instid1(VALU_DEP_1)
	s_xor_b32 s16, s2, -1
	s_bitcmp0_b32 s15, 0
	v_cndmask_b32_e64 v1, 0, 1, s16
	s_mov_b32 s2, s3
	v_cmp_ne_u32_e32 vcc_lo, 1, v1
	s_cbranch_scc1 .LBB14_6
; %bb.1:
	s_and_b32 vcc_lo, exec_lo, vcc_lo
	s_mov_b32 s2, s8
	s_cbranch_vccnz .LBB14_3
; %bb.2:
	s_load_b32 s2, s[8:9], 0x0
.LBB14_3:
	s_and_not1_b32 vcc_lo, exec_lo, s16
	s_cbranch_vccnz .LBB14_5
; %bb.4:
	s_wait_xcnt 0x0
	s_load_b32 s9, s[8:9], 0x4
.LBB14_5:
	s_wait_kmcnt 0x0
	s_mov_b32 s3, s9
.LBB14_6:
	s_clause 0x2
	s_load_b64 s[8:9], s[0:1], 0x58
	s_load_b128 s[16:19], s[0:1], 0x40
	s_load_b128 s[20:23], s[0:1], 0x20
	s_wait_xcnt 0x0
	s_bfe_u32 s0, s28, 0x10008
	s_mov_b32 s28, 0
	s_cmp_eq_u32 s0, 0
	s_mov_b32 s29, s28
	s_cbranch_scc1 .LBB14_12
; %bb.7:
	v_cmp_ne_u32_e32 vcc_lo, 1, v1
	s_mov_b32 s28, s24
	s_cbranch_vccnz .LBB14_9
; %bb.8:
	s_load_b32 s28, s[24:25], 0x0
.LBB14_9:
	v_cmp_ne_u32_e32 vcc_lo, 1, v1
	s_cbranch_vccnz .LBB14_11
; %bb.10:
	s_wait_xcnt 0x0
	s_load_b32 s25, s[24:25], 0x4
.LBB14_11:
	s_wait_kmcnt 0x0
	s_mov_b32 s29, s25
.LBB14_12:
	s_bfe_u32 s0, ttmp6, 0x4000c
	s_and_b32 s1, ttmp6, 15
	s_add_co_i32 s0, s0, 1
	s_getreg_b32 s15, hwreg(HW_REG_IB_STS2, 6, 4)
	s_mul_i32 s0, ttmp9, s0
	v_dual_lshrrev_b32 v1, 5, v0 :: v_dual_mov_b32 v13, 0
	s_add_co_i32 s1, s1, s0
	s_cmp_eq_u32 s15, 0
	s_cselect_b32 s0, ttmp9, s1
	s_mov_b32 s1, 0
	s_lshl_b32 s0, s0, 3
	s_delay_alu instid0(SALU_CYCLE_1) | instskip(SKIP_1) | instid1(VALU_DEP_1)
	v_and_or_b32 v12, 0x7fffff8, s0, v1
	s_mov_b32 s0, exec_lo
	v_cmpx_gt_i64_e64 s[4:5], v[12:13]
	s_cbranch_execz .LBB14_43
; %bb.13:
	v_lshlrev_b32_e32 v1, 3, v12
	s_mov_b32 s0, s12
	s_mov_b32 s4, exec_lo
	s_clause 0x1
	global_load_b128 v[6:9], v1, s[10:11]
	global_load_b128 v[2:5], v1, s[26:27]
	global_load_b64 v[10:11], v12, s[30:31] scale_offset
	s_wait_loadcnt 0x2
	s_wait_xcnt 0x0
	v_cmpx_ge_i64_e64 v[6:7], v[8:9]
	s_xor_b32 s4, exec_lo, s4
	s_delay_alu instid0(SALU_CYCLE_1)
	s_or_saveexec_b32 s4, s4
	v_sub_nc_u64_e64 v[12:13], v[6:7], s[0:1]
	v_mov_b32_e32 v1, s6
	s_xor_b32 exec_lo, exec_lo, s4
	s_cbranch_execz .LBB14_15
; %bb.14:
	s_wait_kmcnt 0x0
	s_delay_alu instid0(VALU_DEP_2)
	v_lshl_add_u64 v[6:7], v[12:13], 2, s[20:21]
	global_load_b32 v1, v[6:7], off
	s_wait_loadcnt 0x0
	v_subrev_nc_u32_e32 v1, s12, v1
.LBB14_15:
	s_or_b32 exec_lo, exec_lo, s4
	v_mov_b32_e32 v20, s6
	s_mov_b32 s5, 0
	s_mov_b32 s4, s13
	s_mov_b32 s10, exec_lo
	s_wait_loadcnt 0x1
	v_cmpx_ge_i64_e64 v[2:3], v[4:5]
	s_xor_b32 s10, exec_lo, s10
; %bb.16:
	v_mov_b32_e32 v20, s6
; %bb.17:
	s_or_saveexec_b32 s10, s10
	v_sub_nc_u64_e64 v[16:17], v[2:3], s[4:5]
	s_delay_alu instid0(VALU_DEP_2)
	v_mov_b32_e32 v14, v20
	s_xor_b32 exec_lo, exec_lo, s10
	s_cbranch_execz .LBB14_19
; %bb.18:
	s_wait_kmcnt 0x0
	s_delay_alu instid0(VALU_DEP_2)
	v_lshl_add_u64 v[2:3], v[16:17], 2, s[16:17]
	global_load_b32 v2, v[2:3], off
	s_wait_loadcnt 0x0
	v_subrev_nc_u32_e32 v14, s13, v2
.LBB14_19:
	s_or_b32 exec_lo, exec_lo, s10
	v_and_b32_e32 v7, 0xe0, v0
	v_and_b32_e32 v6, 31, v0
	v_bitop3_b32 v0, v0, 31, v0 bitop3:0xc
	s_mov_b32 s15, 0
	v_sub_nc_u64_e64 v[2:3], v[8:9], s[0:1]
	v_or_b32_e32 v21, 0x800, v7
	v_dual_mov_b32 v7, 0 :: v_dual_lshlrev_b32 v22, 3, v7
	v_min_i32_e32 v14, v14, v1
	v_mbcnt_lo_u32_b32 v1, -1, 0
	v_lshrrev_b32_e64 v24, v0, -1
	s_wait_loadcnt 0x0
	v_sub_nc_u64_e64 v[8:9], v[10:11], s[14:15]
	v_add_nc_u64_e32 v[10:11], v[12:13], v[6:7]
	v_add_nc_u64_e32 v[12:13], v[16:17], v[6:7]
	v_xor_b32_e32 v0, 8, v1
	v_xor_b32_e32 v15, 16, v1
	v_sub_nc_u64_e64 v[4:5], v[4:5], s[4:5]
	v_lshl_or_b32 v23, v6, 3, v22
	v_mov_b32_e32 v31, 1
	s_xor_b32 s4, s3, 0x80000000
	v_cmp_gt_i32_e32 vcc_lo, 32, v15
	s_xor_b32 s10, s29, 0x80000000
	s_mov_b32 s5, s2
	s_mov_b32 s11, s28
	s_wait_kmcnt 0x0
	s_add_nc_u64 s[22:23], s[22:23], 4
	v_cndmask_b32_e32 v15, v1, v15, vcc_lo
	v_cmp_gt_i32_e32 vcc_lo, 32, v0
	v_xor_b32_e32 v18, 1, v1
	s_add_nc_u64 s[18:19], s[18:19], 4
	s_delay_alu instid0(VALU_DEP_3) | instskip(SKIP_1) | instid1(VALU_DEP_1)
	v_dual_add_nc_u32 v30, v21, v6 :: v_dual_lshlrev_b32 v25, 2, v15
	v_dual_cndmask_b32 v0, v1, v0, vcc_lo :: v_dual_bitop2_b32 v16, 4, v1 bitop3:0x14
	v_cmp_gt_i32_e32 vcc_lo, 32, v16
	s_delay_alu instid0(VALU_DEP_2) | instskip(SKIP_1) | instid1(VALU_DEP_2)
	v_dual_lshlrev_b32 v26, 2, v0 :: v_dual_bitop2_b32 v17, 2, v1 bitop3:0x14
	v_cndmask_b32_e32 v16, v1, v16, vcc_lo
	v_cmp_gt_i32_e32 vcc_lo, 32, v17
	v_cndmask_b32_e32 v17, v1, v17, vcc_lo
	v_cmp_gt_i32_e32 vcc_lo, 32, v18
	s_delay_alu instid0(VALU_DEP_2) | instskip(SKIP_1) | instid1(VALU_DEP_1)
	v_dual_lshlrev_b32 v27, 2, v16 :: v_dual_lshlrev_b32 v28, 2, v17
	v_cndmask_b32_e32 v1, v1, v18, vcc_lo
	v_lshlrev_b32_e32 v29, 2, v1
	v_mov_b64_e32 v[0:1], 0
	s_branch .LBB14_21
.LBB14_20:                              ;   in Loop: Header=BB14_21 Depth=1
	s_wait_xcnt 0x0
	s_or_b32 exec_lo, exec_lo, s14
	ds_bpermute_b32 v6, v25, v15
	s_bcnt1_i32_b32 s14, vcc_lo
	s_delay_alu instid0(SALU_CYCLE_1)
	v_add_nc_u64_e32 v[8:9], s[14:15], v[8:9]
	s_wait_dscnt 0x0
	v_min_i32_e32 v6, v6, v15
	ds_bpermute_b32 v14, v26, v6
	s_wait_dscnt 0x0
	v_min_i32_e32 v6, v14, v6
	ds_bpermute_b32 v14, v27, v6
	;; [unrolled: 3-line block ×4, first 2 shown]
	s_wait_dscnt 0x0
	v_min_i32_e32 v14, v14, v6
	s_delay_alu instid0(VALU_DEP_1) | instskip(NEXT) | instid1(VALU_DEP_1)
	v_ashrrev_i32_e32 v15, 31, v14
	v_cmp_le_i64_e64 s0, s[6:7], v[14:15]
	s_or_b32 s1, s0, s1
	s_delay_alu instid0(SALU_CYCLE_1)
	s_and_not1_b32 exec_lo, exec_lo, s1
	s_cbranch_execz .LBB14_43
.LBB14_21:                              ; =>This Loop Header: Depth=1
                                        ;     Child Loop BB14_24 Depth 2
                                        ;     Child Loop BB14_34 Depth 2
	v_mov_b32_e32 v15, v20
	s_mov_b32 s14, exec_lo
	ds_store_b8 v30, v7
	ds_store_b64 v23, v[0:1]
	s_wait_dscnt 0x0
	v_cmpx_lt_i64_e64 v[10:11], v[2:3]
	s_cbranch_execz .LBB14_31
; %bb.22:                               ;   in Loop: Header=BB14_21 Depth=1
	v_lshl_add_u64 v[16:17], v[10:11], 2, s[20:21]
	v_lshl_add_u64 v[18:19], v[10:11], 3, s[22:23]
	v_mov_b32_e32 v15, v20
	s_mov_b32 s24, 0
	s_branch .LBB14_24
.LBB14_23:                              ;   in Loop: Header=BB14_24 Depth=2
	s_or_b32 exec_lo, exec_lo, s25
	s_delay_alu instid0(SALU_CYCLE_1) | instskip(NEXT) | instid1(SALU_CYCLE_1)
	s_and_b32 s0, exec_lo, s0
	s_or_b32 s24, s0, s24
	s_delay_alu instid0(SALU_CYCLE_1)
	s_and_not1_b32 exec_lo, exec_lo, s24
	s_cbranch_execz .LBB14_30
.LBB14_24:                              ;   Parent Loop BB14_21 Depth=1
                                        ; =>  This Inner Loop Header: Depth=2
	global_load_b32 v6, v[16:17], off
	s_wait_loadcnt 0x0
	v_subrev_nc_u32_e32 v32, s12, v6
	s_delay_alu instid0(VALU_DEP_1) | instskip(NEXT) | instid1(VALU_DEP_1)
	v_sub_nc_u32_e32 v6, v32, v14
	v_cmp_lt_u32_e64 s0, 31, v6
	v_cmp_gt_u32_e32 vcc_lo, 32, v6
	s_wait_xcnt 0x0
	s_and_saveexec_b32 s25, s0
	s_delay_alu instid0(SALU_CYCLE_1)
	s_xor_b32 s0, exec_lo, s25
	s_cbranch_execnz .LBB14_27
; %bb.25:                               ;   in Loop: Header=BB14_24 Depth=2
	s_and_not1_saveexec_b32 s0, s0
	s_cbranch_execnz .LBB14_28
.LBB14_26:                              ;   in Loop: Header=BB14_24 Depth=2
	s_or_b32 exec_lo, exec_lo, s0
	s_mov_b32 s0, -1
	s_and_saveexec_b32 s25, vcc_lo
	s_cbranch_execz .LBB14_23
	s_branch .LBB14_29
.LBB14_27:                              ;   in Loop: Header=BB14_24 Depth=2
	v_min_i32_e32 v15, v32, v15
                                        ; implicit-def: $vgpr6
	s_and_not1_saveexec_b32 s0, s0
	s_cbranch_execz .LBB14_26
.LBB14_28:                              ;   in Loop: Header=BB14_24 Depth=2
	global_load_b64 v[32:33], v[18:19], off offset:-4
	v_mov_b64_e32 v[34:35], s[4:5]
	v_mov_b64_e32 v[36:37], s[2:3]
	v_add_nc_u32_e32 v38, v21, v6
	v_lshl_add_u32 v6, v6, 3, v22
	s_wait_loadcnt 0x0
	s_delay_alu instid0(VALU_DEP_4) | instskip(NEXT) | instid1(VALU_DEP_1)
	v_pk_mul_f32 v[34:35], v[32:33], v[34:35] op_sel:[1,0]
	v_pk_fma_f32 v[32:33], v[36:37], v[32:33], v[34:35] op_sel_hi:[1,0,1]
	ds_store_b8 v38, v31
	ds_store_b64 v6, v[32:33]
	s_wait_xcnt 0x0
	s_or_b32 exec_lo, exec_lo, s0
	s_mov_b32 s0, -1
	s_and_saveexec_b32 s25, vcc_lo
	s_cbranch_execz .LBB14_23
.LBB14_29:                              ;   in Loop: Header=BB14_24 Depth=2
	v_add_nc_u64_e32 v[10:11], 32, v[10:11]
	v_add_nc_u64_e32 v[16:17], 0x80, v[16:17]
	;; [unrolled: 1-line block ×3, first 2 shown]
	s_delay_alu instid0(VALU_DEP_3)
	v_cmp_ge_i64_e32 vcc_lo, v[10:11], v[2:3]
	s_or_not1_b32 s0, vcc_lo, exec_lo
	s_branch .LBB14_23
.LBB14_30:                              ;   in Loop: Header=BB14_21 Depth=1
	s_or_b32 exec_lo, exec_lo, s24
.LBB14_31:                              ;   in Loop: Header=BB14_21 Depth=1
	s_delay_alu instid0(SALU_CYCLE_1) | instskip(NEXT) | instid1(SALU_CYCLE_1)
	s_or_b32 exec_lo, exec_lo, s14
	s_mov_b32 s14, exec_lo
	s_wait_dscnt 0x0
	v_cmpx_lt_i64_e64 v[12:13], v[4:5]
	s_cbranch_execz .LBB14_41
; %bb.32:                               ;   in Loop: Header=BB14_21 Depth=1
	v_lshl_add_u64 v[16:17], v[12:13], 2, s[16:17]
	v_lshl_add_u64 v[18:19], v[12:13], 3, s[18:19]
	s_mov_b32 s24, 0
	s_branch .LBB14_34
.LBB14_33:                              ;   in Loop: Header=BB14_34 Depth=2
	s_or_b32 exec_lo, exec_lo, s25
	s_delay_alu instid0(SALU_CYCLE_1) | instskip(NEXT) | instid1(SALU_CYCLE_1)
	s_and_b32 s0, exec_lo, s0
	s_or_b32 s24, s0, s24
	s_delay_alu instid0(SALU_CYCLE_1)
	s_and_not1_b32 exec_lo, exec_lo, s24
	s_cbranch_execz .LBB14_40
.LBB14_34:                              ;   Parent Loop BB14_21 Depth=1
                                        ; =>  This Inner Loop Header: Depth=2
	global_load_b32 v6, v[16:17], off
	s_wait_loadcnt 0x0
	v_subrev_nc_u32_e32 v32, s13, v6
	s_delay_alu instid0(VALU_DEP_1) | instskip(NEXT) | instid1(VALU_DEP_1)
	v_sub_nc_u32_e32 v6, v32, v14
	v_cmp_lt_u32_e64 s0, 31, v6
	v_cmp_gt_u32_e32 vcc_lo, 32, v6
	s_wait_xcnt 0x0
	s_and_saveexec_b32 s25, s0
	s_delay_alu instid0(SALU_CYCLE_1)
	s_xor_b32 s0, exec_lo, s25
	s_cbranch_execnz .LBB14_37
; %bb.35:                               ;   in Loop: Header=BB14_34 Depth=2
	s_and_not1_saveexec_b32 s0, s0
	s_cbranch_execnz .LBB14_38
.LBB14_36:                              ;   in Loop: Header=BB14_34 Depth=2
	s_or_b32 exec_lo, exec_lo, s0
	s_mov_b32 s0, -1
	s_and_saveexec_b32 s25, vcc_lo
	s_cbranch_execz .LBB14_33
	s_branch .LBB14_39
.LBB14_37:                              ;   in Loop: Header=BB14_34 Depth=2
	v_min_i32_e32 v15, v32, v15
                                        ; implicit-def: $vgpr6
	s_and_not1_saveexec_b32 s0, s0
	s_cbranch_execz .LBB14_36
.LBB14_38:                              ;   in Loop: Header=BB14_34 Depth=2
	global_load_b64 v[32:33], v[18:19], off offset:-4
	v_lshl_add_u32 v38, v6, 3, v22
	v_mov_b64_e32 v[36:37], s[28:29]
	v_add_nc_u32_e32 v6, v21, v6
	ds_load_b64 v[34:35], v38
	s_wait_loadcnt_dscnt 0x0
	v_pk_fma_f32 v[34:35], v[36:37], v[32:33], v[34:35] op_sel_hi:[1,0,1]
	v_mov_b64_e32 v[36:37], s[10:11]
	s_delay_alu instid0(VALU_DEP_1)
	v_pk_fma_f32 v[32:33], v[36:37], v[32:33], v[34:35] op_sel:[0,1,0]
	ds_store_b8 v6, v31
	ds_store_b64 v38, v[32:33]
	s_wait_xcnt 0x0
	s_or_b32 exec_lo, exec_lo, s0
	s_mov_b32 s0, -1
	s_and_saveexec_b32 s25, vcc_lo
	s_cbranch_execz .LBB14_33
.LBB14_39:                              ;   in Loop: Header=BB14_34 Depth=2
	v_add_nc_u64_e32 v[12:13], 32, v[12:13]
	v_add_nc_u64_e32 v[16:17], 0x80, v[16:17]
	;; [unrolled: 1-line block ×3, first 2 shown]
	s_delay_alu instid0(VALU_DEP_3)
	v_cmp_ge_i64_e32 vcc_lo, v[12:13], v[4:5]
	s_or_not1_b32 s0, vcc_lo, exec_lo
	s_branch .LBB14_33
.LBB14_40:                              ;   in Loop: Header=BB14_21 Depth=1
	s_or_b32 exec_lo, exec_lo, s24
.LBB14_41:                              ;   in Loop: Header=BB14_21 Depth=1
	s_delay_alu instid0(SALU_CYCLE_1)
	s_or_b32 exec_lo, exec_lo, s14
	s_wait_dscnt 0x0
	ds_load_u8 v6, v30
	s_mov_b32 s14, exec_lo
	s_wait_dscnt 0x0
	v_and_b32_e32 v14, 1, v6
	v_cmp_ne_u16_e32 vcc_lo, 0, v6
	s_delay_alu instid0(VALU_DEP_2)
	v_cmpx_eq_u32_e32 1, v14
	s_cbranch_execz .LBB14_20
; %bb.42:                               ;   in Loop: Header=BB14_21 Depth=1
	v_and_b32_e32 v6, vcc_lo, v24
	ds_load_b64 v[16:17], v23
	v_lshl_add_u64 v[18:19], v[8:9], 3, s[8:9]
	v_bcnt_u32_b32 v6, v6, 0
	s_delay_alu instid0(VALU_DEP_1) | instskip(NEXT) | instid1(VALU_DEP_1)
	v_lshlrev_b32_e32 v6, 3, v6
	v_add_nc_u64_e32 v[18:19], v[18:19], v[6:7]
	s_wait_dscnt 0x0
	global_store_b64 v[18:19], v[16:17], off offset:-8
	s_branch .LBB14_20
.LBB14_43:
	s_endpgm
	.section	.rodata,"a",@progbits
	.p2align	6, 0x0
	.amdhsa_kernel _ZN9rocsparseL37csrgeam_fill_numeric_multipass_kernelILj256ELj32Eli21rocsparse_complex_numIfEEEvllNS_24const_host_device_scalarIT3_EEPKT1_PKT2_PKS4_S5_S8_SB_SD_S8_PS4_21rocsparse_index_base_SF_SF_bbb
		.amdhsa_group_segment_fixed_size 2304
		.amdhsa_private_segment_fixed_size 0
		.amdhsa_kernarg_size 112
		.amdhsa_user_sgpr_count 2
		.amdhsa_user_sgpr_dispatch_ptr 0
		.amdhsa_user_sgpr_queue_ptr 0
		.amdhsa_user_sgpr_kernarg_segment_ptr 1
		.amdhsa_user_sgpr_dispatch_id 0
		.amdhsa_user_sgpr_kernarg_preload_length 0
		.amdhsa_user_sgpr_kernarg_preload_offset 0
		.amdhsa_user_sgpr_private_segment_size 0
		.amdhsa_wavefront_size32 1
		.amdhsa_uses_dynamic_stack 0
		.amdhsa_enable_private_segment 0
		.amdhsa_system_sgpr_workgroup_id_x 1
		.amdhsa_system_sgpr_workgroup_id_y 0
		.amdhsa_system_sgpr_workgroup_id_z 0
		.amdhsa_system_sgpr_workgroup_info 0
		.amdhsa_system_vgpr_workitem_id 0
		.amdhsa_next_free_vgpr 39
		.amdhsa_next_free_sgpr 32
		.amdhsa_named_barrier_count 0
		.amdhsa_reserve_vcc 1
		.amdhsa_float_round_mode_32 0
		.amdhsa_float_round_mode_16_64 0
		.amdhsa_float_denorm_mode_32 3
		.amdhsa_float_denorm_mode_16_64 3
		.amdhsa_fp16_overflow 0
		.amdhsa_memory_ordered 1
		.amdhsa_forward_progress 1
		.amdhsa_inst_pref_size 14
		.amdhsa_round_robin_scheduling 0
		.amdhsa_exception_fp_ieee_invalid_op 0
		.amdhsa_exception_fp_denorm_src 0
		.amdhsa_exception_fp_ieee_div_zero 0
		.amdhsa_exception_fp_ieee_overflow 0
		.amdhsa_exception_fp_ieee_underflow 0
		.amdhsa_exception_fp_ieee_inexact 0
		.amdhsa_exception_int_div_zero 0
	.end_amdhsa_kernel
	.section	.text._ZN9rocsparseL37csrgeam_fill_numeric_multipass_kernelILj256ELj32Eli21rocsparse_complex_numIfEEEvllNS_24const_host_device_scalarIT3_EEPKT1_PKT2_PKS4_S5_S8_SB_SD_S8_PS4_21rocsparse_index_base_SF_SF_bbb,"axG",@progbits,_ZN9rocsparseL37csrgeam_fill_numeric_multipass_kernelILj256ELj32Eli21rocsparse_complex_numIfEEEvllNS_24const_host_device_scalarIT3_EEPKT1_PKT2_PKS4_S5_S8_SB_SD_S8_PS4_21rocsparse_index_base_SF_SF_bbb,comdat
.Lfunc_end14:
	.size	_ZN9rocsparseL37csrgeam_fill_numeric_multipass_kernelILj256ELj32Eli21rocsparse_complex_numIfEEEvllNS_24const_host_device_scalarIT3_EEPKT1_PKT2_PKS4_S5_S8_SB_SD_S8_PS4_21rocsparse_index_base_SF_SF_bbb, .Lfunc_end14-_ZN9rocsparseL37csrgeam_fill_numeric_multipass_kernelILj256ELj32Eli21rocsparse_complex_numIfEEEvllNS_24const_host_device_scalarIT3_EEPKT1_PKT2_PKS4_S5_S8_SB_SD_S8_PS4_21rocsparse_index_base_SF_SF_bbb
                                        ; -- End function
	.set _ZN9rocsparseL37csrgeam_fill_numeric_multipass_kernelILj256ELj32Eli21rocsparse_complex_numIfEEEvllNS_24const_host_device_scalarIT3_EEPKT1_PKT2_PKS4_S5_S8_SB_SD_S8_PS4_21rocsparse_index_base_SF_SF_bbb.num_vgpr, 39
	.set _ZN9rocsparseL37csrgeam_fill_numeric_multipass_kernelILj256ELj32Eli21rocsparse_complex_numIfEEEvllNS_24const_host_device_scalarIT3_EEPKT1_PKT2_PKS4_S5_S8_SB_SD_S8_PS4_21rocsparse_index_base_SF_SF_bbb.num_agpr, 0
	.set _ZN9rocsparseL37csrgeam_fill_numeric_multipass_kernelILj256ELj32Eli21rocsparse_complex_numIfEEEvllNS_24const_host_device_scalarIT3_EEPKT1_PKT2_PKS4_S5_S8_SB_SD_S8_PS4_21rocsparse_index_base_SF_SF_bbb.numbered_sgpr, 32
	.set _ZN9rocsparseL37csrgeam_fill_numeric_multipass_kernelILj256ELj32Eli21rocsparse_complex_numIfEEEvllNS_24const_host_device_scalarIT3_EEPKT1_PKT2_PKS4_S5_S8_SB_SD_S8_PS4_21rocsparse_index_base_SF_SF_bbb.num_named_barrier, 0
	.set _ZN9rocsparseL37csrgeam_fill_numeric_multipass_kernelILj256ELj32Eli21rocsparse_complex_numIfEEEvllNS_24const_host_device_scalarIT3_EEPKT1_PKT2_PKS4_S5_S8_SB_SD_S8_PS4_21rocsparse_index_base_SF_SF_bbb.private_seg_size, 0
	.set _ZN9rocsparseL37csrgeam_fill_numeric_multipass_kernelILj256ELj32Eli21rocsparse_complex_numIfEEEvllNS_24const_host_device_scalarIT3_EEPKT1_PKT2_PKS4_S5_S8_SB_SD_S8_PS4_21rocsparse_index_base_SF_SF_bbb.uses_vcc, 1
	.set _ZN9rocsparseL37csrgeam_fill_numeric_multipass_kernelILj256ELj32Eli21rocsparse_complex_numIfEEEvllNS_24const_host_device_scalarIT3_EEPKT1_PKT2_PKS4_S5_S8_SB_SD_S8_PS4_21rocsparse_index_base_SF_SF_bbb.uses_flat_scratch, 0
	.set _ZN9rocsparseL37csrgeam_fill_numeric_multipass_kernelILj256ELj32Eli21rocsparse_complex_numIfEEEvllNS_24const_host_device_scalarIT3_EEPKT1_PKT2_PKS4_S5_S8_SB_SD_S8_PS4_21rocsparse_index_base_SF_SF_bbb.has_dyn_sized_stack, 0
	.set _ZN9rocsparseL37csrgeam_fill_numeric_multipass_kernelILj256ELj32Eli21rocsparse_complex_numIfEEEvllNS_24const_host_device_scalarIT3_EEPKT1_PKT2_PKS4_S5_S8_SB_SD_S8_PS4_21rocsparse_index_base_SF_SF_bbb.has_recursion, 0
	.set _ZN9rocsparseL37csrgeam_fill_numeric_multipass_kernelILj256ELj32Eli21rocsparse_complex_numIfEEEvllNS_24const_host_device_scalarIT3_EEPKT1_PKT2_PKS4_S5_S8_SB_SD_S8_PS4_21rocsparse_index_base_SF_SF_bbb.has_indirect_call, 0
	.section	.AMDGPU.csdata,"",@progbits
; Kernel info:
; codeLenInByte = 1732
; TotalNumSgprs: 34
; NumVgprs: 39
; ScratchSize: 0
; MemoryBound: 0
; FloatMode: 240
; IeeeMode: 1
; LDSByteSize: 2304 bytes/workgroup (compile time only)
; SGPRBlocks: 0
; VGPRBlocks: 2
; NumSGPRsForWavesPerEU: 34
; NumVGPRsForWavesPerEU: 39
; NamedBarCnt: 0
; Occupancy: 16
; WaveLimiterHint : 1
; COMPUTE_PGM_RSRC2:SCRATCH_EN: 0
; COMPUTE_PGM_RSRC2:USER_SGPR: 2
; COMPUTE_PGM_RSRC2:TRAP_HANDLER: 0
; COMPUTE_PGM_RSRC2:TGID_X_EN: 1
; COMPUTE_PGM_RSRC2:TGID_Y_EN: 0
; COMPUTE_PGM_RSRC2:TGID_Z_EN: 0
; COMPUTE_PGM_RSRC2:TIDIG_COMP_CNT: 0
	.section	.text._ZN9rocsparseL37csrgeam_fill_numeric_multipass_kernelILj256ELj64Eli21rocsparse_complex_numIfEEEvllNS_24const_host_device_scalarIT3_EEPKT1_PKT2_PKS4_S5_S8_SB_SD_S8_PS4_21rocsparse_index_base_SF_SF_bbb,"axG",@progbits,_ZN9rocsparseL37csrgeam_fill_numeric_multipass_kernelILj256ELj64Eli21rocsparse_complex_numIfEEEvllNS_24const_host_device_scalarIT3_EEPKT1_PKT2_PKS4_S5_S8_SB_SD_S8_PS4_21rocsparse_index_base_SF_SF_bbb,comdat
	.globl	_ZN9rocsparseL37csrgeam_fill_numeric_multipass_kernelILj256ELj64Eli21rocsparse_complex_numIfEEEvllNS_24const_host_device_scalarIT3_EEPKT1_PKT2_PKS4_S5_S8_SB_SD_S8_PS4_21rocsparse_index_base_SF_SF_bbb ; -- Begin function _ZN9rocsparseL37csrgeam_fill_numeric_multipass_kernelILj256ELj64Eli21rocsparse_complex_numIfEEEvllNS_24const_host_device_scalarIT3_EEPKT1_PKT2_PKS4_S5_S8_SB_SD_S8_PS4_21rocsparse_index_base_SF_SF_bbb
	.p2align	8
	.type	_ZN9rocsparseL37csrgeam_fill_numeric_multipass_kernelILj256ELj64Eli21rocsparse_complex_numIfEEEvllNS_24const_host_device_scalarIT3_EEPKT1_PKT2_PKS4_S5_S8_SB_SD_S8_PS4_21rocsparse_index_base_SF_SF_bbb,@function
_ZN9rocsparseL37csrgeam_fill_numeric_multipass_kernelILj256ELj64Eli21rocsparse_complex_numIfEEEvllNS_24const_host_device_scalarIT3_EEPKT1_PKT2_PKS4_S5_S8_SB_SD_S8_PS4_21rocsparse_index_base_SF_SF_bbb: ; @_ZN9rocsparseL37csrgeam_fill_numeric_multipass_kernelILj256ELj64Eli21rocsparse_complex_numIfEEEvllNS_24const_host_device_scalarIT3_EEPKT1_PKT2_PKS4_S5_S8_SB_SD_S8_PS4_21rocsparse_index_base_SF_SF_bbb
; %bb.0:
	s_clause 0x4
	s_load_b32 s28, s[0:1], 0x6c
	s_load_b128 s[12:15], s[0:1], 0x60
	s_load_b256 s[4:11], s[0:1], 0x0
	s_load_b64 s[30:31], s[0:1], 0x50
	s_load_b128 s[24:27], s[0:1], 0x30
	s_mov_b32 s3, 0
	s_wait_kmcnt 0x0
	s_bitcmp1_b32 s28, 16
	s_cselect_b32 s2, -1, 0
	s_delay_alu instid0(SALU_CYCLE_1) | instskip(SKIP_3) | instid1(VALU_DEP_1)
	s_xor_b32 s16, s2, -1
	s_bitcmp0_b32 s15, 0
	v_cndmask_b32_e64 v1, 0, 1, s16
	s_mov_b32 s2, s3
	v_cmp_ne_u32_e32 vcc_lo, 1, v1
	s_cbranch_scc1 .LBB15_6
; %bb.1:
	s_and_b32 vcc_lo, exec_lo, vcc_lo
	s_mov_b32 s2, s8
	s_cbranch_vccnz .LBB15_3
; %bb.2:
	s_load_b32 s2, s[8:9], 0x0
.LBB15_3:
	s_and_not1_b32 vcc_lo, exec_lo, s16
	s_cbranch_vccnz .LBB15_5
; %bb.4:
	s_wait_xcnt 0x0
	s_load_b32 s9, s[8:9], 0x4
.LBB15_5:
	s_wait_kmcnt 0x0
	s_mov_b32 s3, s9
.LBB15_6:
	s_clause 0x2
	s_load_b64 s[8:9], s[0:1], 0x58
	s_load_b128 s[16:19], s[0:1], 0x40
	s_load_b128 s[20:23], s[0:1], 0x20
	s_wait_xcnt 0x0
	s_bfe_u32 s0, s28, 0x10008
	s_mov_b32 s28, 0
	s_cmp_eq_u32 s0, 0
	s_mov_b32 s29, s28
	s_cbranch_scc1 .LBB15_12
; %bb.7:
	v_cmp_ne_u32_e32 vcc_lo, 1, v1
	s_mov_b32 s28, s24
	s_cbranch_vccnz .LBB15_9
; %bb.8:
	s_load_b32 s28, s[24:25], 0x0
.LBB15_9:
	v_cmp_ne_u32_e32 vcc_lo, 1, v1
	s_cbranch_vccnz .LBB15_11
; %bb.10:
	s_wait_xcnt 0x0
	s_load_b32 s25, s[24:25], 0x4
.LBB15_11:
	s_wait_kmcnt 0x0
	s_mov_b32 s29, s25
.LBB15_12:
	s_bfe_u32 s0, ttmp6, 0x4000c
	s_and_b32 s1, ttmp6, 15
	s_add_co_i32 s0, s0, 1
	s_getreg_b32 s15, hwreg(HW_REG_IB_STS2, 6, 4)
	s_mul_i32 s0, ttmp9, s0
	v_dual_lshrrev_b32 v1, 6, v0 :: v_dual_mov_b32 v13, 0
	s_add_co_i32 s1, s1, s0
	s_cmp_eq_u32 s15, 0
	s_cselect_b32 s0, ttmp9, s1
	s_mov_b32 s1, 0
	s_lshl_b32 s0, s0, 2
	s_delay_alu instid0(SALU_CYCLE_1) | instskip(SKIP_1) | instid1(VALU_DEP_1)
	v_and_or_b32 v12, 0x3fffffc, s0, v1
	s_mov_b32 s0, exec_lo
	v_cmpx_gt_i64_e64 s[4:5], v[12:13]
	s_cbranch_execz .LBB15_43
; %bb.13:
	v_lshlrev_b32_e32 v1, 3, v12
	s_mov_b32 s0, s12
	s_mov_b32 s4, exec_lo
	s_clause 0x1
	global_load_b128 v[6:9], v1, s[10:11]
	global_load_b128 v[2:5], v1, s[26:27]
	global_load_b64 v[10:11], v12, s[30:31] scale_offset
	s_wait_loadcnt 0x2
	s_wait_xcnt 0x0
	v_cmpx_ge_i64_e64 v[6:7], v[8:9]
	s_xor_b32 s4, exec_lo, s4
	s_delay_alu instid0(SALU_CYCLE_1)
	s_or_saveexec_b32 s4, s4
	v_sub_nc_u64_e64 v[12:13], v[6:7], s[0:1]
	v_mov_b32_e32 v1, s6
	s_xor_b32 exec_lo, exec_lo, s4
	s_cbranch_execz .LBB15_15
; %bb.14:
	s_wait_kmcnt 0x0
	s_delay_alu instid0(VALU_DEP_2)
	v_lshl_add_u64 v[6:7], v[12:13], 2, s[20:21]
	global_load_b32 v1, v[6:7], off
	s_wait_loadcnt 0x0
	v_subrev_nc_u32_e32 v1, s12, v1
.LBB15_15:
	s_or_b32 exec_lo, exec_lo, s4
	v_mov_b32_e32 v22, s6
	s_mov_b32 s5, 0
	s_mov_b32 s4, s13
	s_mov_b32 s10, exec_lo
	s_wait_loadcnt 0x1
	v_cmpx_ge_i64_e64 v[2:3], v[4:5]
	s_xor_b32 s10, exec_lo, s10
; %bb.16:
	v_mov_b32_e32 v22, s6
; %bb.17:
	s_or_saveexec_b32 s10, s10
	v_sub_nc_u64_e64 v[16:17], v[2:3], s[4:5]
	s_delay_alu instid0(VALU_DEP_2)
	v_mov_b32_e32 v14, v22
	s_xor_b32 exec_lo, exec_lo, s10
	s_cbranch_execz .LBB15_19
; %bb.18:
	s_wait_kmcnt 0x0
	s_delay_alu instid0(VALU_DEP_2)
	v_lshl_add_u64 v[2:3], v[16:17], 2, s[16:17]
	global_load_b32 v2, v[2:3], off
	s_wait_loadcnt 0x0
	v_subrev_nc_u32_e32 v14, s13, v2
.LBB15_19:
	s_or_b32 exec_lo, exec_lo, s10
	v_and_b32_e32 v7, 0xc0, v0
	v_and_b32_e32 v6, 63, v0
	v_mbcnt_lo_u32_b32 v15, -1, 0
	s_mov_b32 s15, 0
	v_sub_nc_u64_e64 v[2:3], v[8:9], s[0:1]
	v_or_b32_e32 v23, 0x800, v7
	v_dual_mov_b32 v7, 0 :: v_dual_lshlrev_b32 v24, 3, v7
	v_min_i32_e32 v14, v14, v1
	s_wait_loadcnt 0x0
	v_sub_nc_u64_e64 v[8:9], v[10:11], s[14:15]
	v_bitop3_b32 v0, v0, 63, v0 bitop3:0xc
	v_sub_nc_u64_e64 v[4:5], v[4:5], s[4:5]
	v_add_nc_u64_e32 v[10:11], v[12:13], v[6:7]
	v_add_nc_u64_e32 v[12:13], v[16:17], v[6:7]
	v_xor_b32_e32 v17, 16, v15
	v_or_b32_e32 v1, 32, v15
	v_lshl_or_b32 v25, v6, 3, v24
	s_xor_b32 s4, s3, 0x80000000
	s_xor_b32 s10, s29, 0x80000000
	s_mov_b32 s5, s2
	v_cmp_gt_i32_e32 vcc_lo, 32, v1
	v_xor_b32_e32 v18, 4, v15
	s_mov_b32 s11, s28
	s_wait_kmcnt 0x0
	s_add_nc_u64 s[22:23], s[22:23], 4
	s_add_nc_u64 s[18:19], s[18:19], 4
	v_cndmask_b32_e32 v16, v15, v1, vcc_lo
	v_lshrrev_b64 v[0:1], v0, -1
	v_dual_mov_b32 v32, 1 :: v_dual_add_nc_u32 v31, v23, v6
	s_delay_alu instid0(VALU_DEP_3) | instskip(SKIP_2) | instid1(VALU_DEP_3)
	v_dual_lshlrev_b32 v1, 2, v16 :: v_dual_bitop2_b32 v16, 8, v15 bitop3:0x14
	v_cmp_gt_i32_e32 vcc_lo, 32, v17
	v_cndmask_b32_e32 v17, v15, v17, vcc_lo
	v_cmp_gt_i32_e32 vcc_lo, 32, v16
	v_xor_b32_e32 v19, 2, v15
	s_delay_alu instid0(VALU_DEP_3) | instskip(SKIP_4) | instid1(VALU_DEP_4)
	v_dual_lshlrev_b32 v26, 2, v17 :: v_dual_bitop2_b32 v20, 1, v15 bitop3:0x14
	v_cndmask_b32_e32 v16, v15, v16, vcc_lo
	v_cmp_gt_i32_e32 vcc_lo, 32, v18
	v_cndmask_b32_e32 v18, v15, v18, vcc_lo
	v_cmp_gt_i32_e32 vcc_lo, 32, v19
	v_lshlrev_b32_e32 v27, 2, v16
	v_mov_b64_e32 v[16:17], 0
	s_delay_alu instid0(VALU_DEP_4) | instskip(SKIP_1) | instid1(VALU_DEP_2)
	v_dual_cndmask_b32 v19, v15, v19 :: v_dual_lshlrev_b32 v28, 2, v18
	v_cmp_gt_i32_e32 vcc_lo, 32, v20
	v_dual_cndmask_b32 v15, v15, v20, vcc_lo :: v_dual_lshlrev_b32 v29, 2, v19
	s_delay_alu instid0(VALU_DEP_1)
	v_lshlrev_b32_e32 v30, 2, v15
	s_branch .LBB15_21
.LBB15_20:                              ;   in Loop: Header=BB15_21 Depth=1
	s_wait_xcnt 0x0
	s_or_b32 exec_lo, exec_lo, s14
	ds_bpermute_b32 v6, v1, v15
	s_bcnt1_i32_b32 s14, vcc_lo
	s_delay_alu instid0(SALU_CYCLE_1)
	v_add_nc_u64_e32 v[8:9], s[14:15], v[8:9]
	s_wait_dscnt 0x0
	v_min_i32_e32 v6, v6, v15
	ds_bpermute_b32 v14, v26, v6
	s_wait_dscnt 0x0
	v_min_i32_e32 v6, v14, v6
	ds_bpermute_b32 v14, v27, v6
	;; [unrolled: 3-line block ×5, first 2 shown]
	s_wait_dscnt 0x0
	v_min_i32_e32 v14, v14, v6
	s_delay_alu instid0(VALU_DEP_1) | instskip(NEXT) | instid1(VALU_DEP_1)
	v_ashrrev_i32_e32 v15, 31, v14
	v_cmp_le_i64_e64 s0, s[6:7], v[14:15]
	s_or_b32 s1, s0, s1
	s_delay_alu instid0(SALU_CYCLE_1)
	s_and_not1_b32 exec_lo, exec_lo, s1
	s_cbranch_execz .LBB15_43
.LBB15_21:                              ; =>This Loop Header: Depth=1
                                        ;     Child Loop BB15_24 Depth 2
                                        ;     Child Loop BB15_34 Depth 2
	v_mov_b32_e32 v15, v22
	s_mov_b32 s14, exec_lo
	ds_store_b8 v31, v7
	ds_store_b64 v25, v[16:17]
	s_wait_dscnt 0x0
	v_cmpx_lt_i64_e64 v[10:11], v[2:3]
	s_cbranch_execz .LBB15_31
; %bb.22:                               ;   in Loop: Header=BB15_21 Depth=1
	v_lshl_add_u64 v[18:19], v[10:11], 2, s[20:21]
	v_lshl_add_u64 v[20:21], v[10:11], 3, s[22:23]
	v_mov_b32_e32 v15, v22
	s_mov_b32 s24, 0
	s_branch .LBB15_24
.LBB15_23:                              ;   in Loop: Header=BB15_24 Depth=2
	s_or_b32 exec_lo, exec_lo, s25
	s_delay_alu instid0(SALU_CYCLE_1) | instskip(NEXT) | instid1(SALU_CYCLE_1)
	s_and_b32 s0, exec_lo, s0
	s_or_b32 s24, s0, s24
	s_delay_alu instid0(SALU_CYCLE_1)
	s_and_not1_b32 exec_lo, exec_lo, s24
	s_cbranch_execz .LBB15_30
.LBB15_24:                              ;   Parent Loop BB15_21 Depth=1
                                        ; =>  This Inner Loop Header: Depth=2
	global_load_b32 v6, v[18:19], off
	s_wait_loadcnt 0x0
	v_subrev_nc_u32_e32 v33, s12, v6
	s_delay_alu instid0(VALU_DEP_1) | instskip(NEXT) | instid1(VALU_DEP_1)
	v_sub_nc_u32_e32 v6, v33, v14
	v_cmp_lt_u32_e64 s0, 63, v6
	v_cmp_gt_u32_e32 vcc_lo, 64, v6
	s_wait_xcnt 0x0
	s_and_saveexec_b32 s25, s0
	s_delay_alu instid0(SALU_CYCLE_1)
	s_xor_b32 s0, exec_lo, s25
	s_cbranch_execnz .LBB15_27
; %bb.25:                               ;   in Loop: Header=BB15_24 Depth=2
	s_and_not1_saveexec_b32 s0, s0
	s_cbranch_execnz .LBB15_28
.LBB15_26:                              ;   in Loop: Header=BB15_24 Depth=2
	s_or_b32 exec_lo, exec_lo, s0
	s_mov_b32 s0, -1
	s_and_saveexec_b32 s25, vcc_lo
	s_cbranch_execz .LBB15_23
	s_branch .LBB15_29
.LBB15_27:                              ;   in Loop: Header=BB15_24 Depth=2
	v_min_i32_e32 v15, v33, v15
                                        ; implicit-def: $vgpr6
	s_and_not1_saveexec_b32 s0, s0
	s_cbranch_execz .LBB15_26
.LBB15_28:                              ;   in Loop: Header=BB15_24 Depth=2
	global_load_b64 v[34:35], v[20:21], off offset:-4
	v_mov_b64_e32 v[36:37], s[4:5]
	v_mov_b64_e32 v[38:39], s[2:3]
	v_add_nc_u32_e32 v33, v23, v6
	v_lshl_add_u32 v6, v6, 3, v24
	s_wait_loadcnt 0x0
	s_delay_alu instid0(VALU_DEP_4) | instskip(NEXT) | instid1(VALU_DEP_1)
	v_pk_mul_f32 v[36:37], v[34:35], v[36:37] op_sel:[1,0]
	v_pk_fma_f32 v[34:35], v[38:39], v[34:35], v[36:37] op_sel_hi:[1,0,1]
	ds_store_b8 v33, v32
	ds_store_b64 v6, v[34:35]
	s_wait_xcnt 0x0
	s_or_b32 exec_lo, exec_lo, s0
	s_mov_b32 s0, -1
	s_and_saveexec_b32 s25, vcc_lo
	s_cbranch_execz .LBB15_23
.LBB15_29:                              ;   in Loop: Header=BB15_24 Depth=2
	v_add_nc_u64_e32 v[10:11], 64, v[10:11]
	v_add_nc_u64_e32 v[18:19], 0x100, v[18:19]
	;; [unrolled: 1-line block ×3, first 2 shown]
	s_delay_alu instid0(VALU_DEP_3)
	v_cmp_ge_i64_e32 vcc_lo, v[10:11], v[2:3]
	s_or_not1_b32 s0, vcc_lo, exec_lo
	s_branch .LBB15_23
.LBB15_30:                              ;   in Loop: Header=BB15_21 Depth=1
	s_or_b32 exec_lo, exec_lo, s24
.LBB15_31:                              ;   in Loop: Header=BB15_21 Depth=1
	s_delay_alu instid0(SALU_CYCLE_1) | instskip(NEXT) | instid1(SALU_CYCLE_1)
	s_or_b32 exec_lo, exec_lo, s14
	s_mov_b32 s14, exec_lo
	s_wait_dscnt 0x0
	v_cmpx_lt_i64_e64 v[12:13], v[4:5]
	s_cbranch_execz .LBB15_41
; %bb.32:                               ;   in Loop: Header=BB15_21 Depth=1
	v_lshl_add_u64 v[18:19], v[12:13], 2, s[16:17]
	v_lshl_add_u64 v[20:21], v[12:13], 3, s[18:19]
	s_mov_b32 s24, 0
	s_branch .LBB15_34
.LBB15_33:                              ;   in Loop: Header=BB15_34 Depth=2
	s_or_b32 exec_lo, exec_lo, s25
	s_delay_alu instid0(SALU_CYCLE_1) | instskip(NEXT) | instid1(SALU_CYCLE_1)
	s_and_b32 s0, exec_lo, s0
	s_or_b32 s24, s0, s24
	s_delay_alu instid0(SALU_CYCLE_1)
	s_and_not1_b32 exec_lo, exec_lo, s24
	s_cbranch_execz .LBB15_40
.LBB15_34:                              ;   Parent Loop BB15_21 Depth=1
                                        ; =>  This Inner Loop Header: Depth=2
	global_load_b32 v6, v[18:19], off
	s_wait_loadcnt 0x0
	v_subrev_nc_u32_e32 v33, s13, v6
	s_delay_alu instid0(VALU_DEP_1) | instskip(NEXT) | instid1(VALU_DEP_1)
	v_sub_nc_u32_e32 v6, v33, v14
	v_cmp_lt_u32_e64 s0, 63, v6
	v_cmp_gt_u32_e32 vcc_lo, 64, v6
	s_wait_xcnt 0x0
	s_and_saveexec_b32 s25, s0
	s_delay_alu instid0(SALU_CYCLE_1)
	s_xor_b32 s0, exec_lo, s25
	s_cbranch_execnz .LBB15_37
; %bb.35:                               ;   in Loop: Header=BB15_34 Depth=2
	s_and_not1_saveexec_b32 s0, s0
	s_cbranch_execnz .LBB15_38
.LBB15_36:                              ;   in Loop: Header=BB15_34 Depth=2
	s_or_b32 exec_lo, exec_lo, s0
	s_mov_b32 s0, -1
	s_and_saveexec_b32 s25, vcc_lo
	s_cbranch_execz .LBB15_33
	s_branch .LBB15_39
.LBB15_37:                              ;   in Loop: Header=BB15_34 Depth=2
	v_min_i32_e32 v15, v33, v15
                                        ; implicit-def: $vgpr6
	s_and_not1_saveexec_b32 s0, s0
	s_cbranch_execz .LBB15_36
.LBB15_38:                              ;   in Loop: Header=BB15_34 Depth=2
	global_load_b64 v[34:35], v[20:21], off offset:-4
	v_lshl_add_u32 v33, v6, 3, v24
	v_mov_b64_e32 v[38:39], s[28:29]
	v_add_nc_u32_e32 v6, v23, v6
	ds_load_b64 v[36:37], v33
	s_wait_loadcnt_dscnt 0x0
	v_pk_fma_f32 v[36:37], v[38:39], v[34:35], v[36:37] op_sel_hi:[1,0,1]
	v_mov_b64_e32 v[38:39], s[10:11]
	s_delay_alu instid0(VALU_DEP_1)
	v_pk_fma_f32 v[34:35], v[38:39], v[34:35], v[36:37] op_sel:[0,1,0]
	ds_store_b8 v6, v32
	ds_store_b64 v33, v[34:35]
	s_wait_xcnt 0x0
	s_or_b32 exec_lo, exec_lo, s0
	s_mov_b32 s0, -1
	s_and_saveexec_b32 s25, vcc_lo
	s_cbranch_execz .LBB15_33
.LBB15_39:                              ;   in Loop: Header=BB15_34 Depth=2
	v_add_nc_u64_e32 v[12:13], 64, v[12:13]
	v_add_nc_u64_e32 v[18:19], 0x100, v[18:19]
	;; [unrolled: 1-line block ×3, first 2 shown]
	s_delay_alu instid0(VALU_DEP_3)
	v_cmp_ge_i64_e32 vcc_lo, v[12:13], v[4:5]
	s_or_not1_b32 s0, vcc_lo, exec_lo
	s_branch .LBB15_33
.LBB15_40:                              ;   in Loop: Header=BB15_21 Depth=1
	s_or_b32 exec_lo, exec_lo, s24
.LBB15_41:                              ;   in Loop: Header=BB15_21 Depth=1
	s_delay_alu instid0(SALU_CYCLE_1)
	s_or_b32 exec_lo, exec_lo, s14
	s_wait_dscnt 0x0
	ds_load_u8 v6, v31
	s_mov_b32 s14, exec_lo
	s_wait_dscnt 0x0
	v_and_b32_e32 v14, 1, v6
	v_cmp_ne_u16_e32 vcc_lo, 0, v6
	s_delay_alu instid0(VALU_DEP_2)
	v_cmpx_eq_u32_e32 1, v14
	s_cbranch_execz .LBB15_20
; %bb.42:                               ;   in Loop: Header=BB15_21 Depth=1
	v_and_b32_e32 v6, vcc_lo, v0
	ds_load_b64 v[18:19], v25
	v_lshl_add_u64 v[20:21], v[8:9], 3, s[8:9]
	v_bcnt_u32_b32 v6, v6, 0
	s_delay_alu instid0(VALU_DEP_1) | instskip(NEXT) | instid1(VALU_DEP_1)
	v_lshlrev_b32_e32 v6, 3, v6
	v_add_nc_u64_e32 v[20:21], v[20:21], v[6:7]
	s_wait_dscnt 0x0
	global_store_b64 v[20:21], v[18:19], off offset:-8
	s_branch .LBB15_20
.LBB15_43:
	s_endpgm
	.section	.rodata,"a",@progbits
	.p2align	6, 0x0
	.amdhsa_kernel _ZN9rocsparseL37csrgeam_fill_numeric_multipass_kernelILj256ELj64Eli21rocsparse_complex_numIfEEEvllNS_24const_host_device_scalarIT3_EEPKT1_PKT2_PKS4_S5_S8_SB_SD_S8_PS4_21rocsparse_index_base_SF_SF_bbb
		.amdhsa_group_segment_fixed_size 2304
		.amdhsa_private_segment_fixed_size 0
		.amdhsa_kernarg_size 112
		.amdhsa_user_sgpr_count 2
		.amdhsa_user_sgpr_dispatch_ptr 0
		.amdhsa_user_sgpr_queue_ptr 0
		.amdhsa_user_sgpr_kernarg_segment_ptr 1
		.amdhsa_user_sgpr_dispatch_id 0
		.amdhsa_user_sgpr_kernarg_preload_length 0
		.amdhsa_user_sgpr_kernarg_preload_offset 0
		.amdhsa_user_sgpr_private_segment_size 0
		.amdhsa_wavefront_size32 1
		.amdhsa_uses_dynamic_stack 0
		.amdhsa_enable_private_segment 0
		.amdhsa_system_sgpr_workgroup_id_x 1
		.amdhsa_system_sgpr_workgroup_id_y 0
		.amdhsa_system_sgpr_workgroup_id_z 0
		.amdhsa_system_sgpr_workgroup_info 0
		.amdhsa_system_vgpr_workitem_id 0
		.amdhsa_next_free_vgpr 40
		.amdhsa_next_free_sgpr 32
		.amdhsa_named_barrier_count 0
		.amdhsa_reserve_vcc 1
		.amdhsa_float_round_mode_32 0
		.amdhsa_float_round_mode_16_64 0
		.amdhsa_float_denorm_mode_32 3
		.amdhsa_float_denorm_mode_16_64 3
		.amdhsa_fp16_overflow 0
		.amdhsa_memory_ordered 1
		.amdhsa_forward_progress 1
		.amdhsa_inst_pref_size 14
		.amdhsa_round_robin_scheduling 0
		.amdhsa_exception_fp_ieee_invalid_op 0
		.amdhsa_exception_fp_denorm_src 0
		.amdhsa_exception_fp_ieee_div_zero 0
		.amdhsa_exception_fp_ieee_overflow 0
		.amdhsa_exception_fp_ieee_underflow 0
		.amdhsa_exception_fp_ieee_inexact 0
		.amdhsa_exception_int_div_zero 0
	.end_amdhsa_kernel
	.section	.text._ZN9rocsparseL37csrgeam_fill_numeric_multipass_kernelILj256ELj64Eli21rocsparse_complex_numIfEEEvllNS_24const_host_device_scalarIT3_EEPKT1_PKT2_PKS4_S5_S8_SB_SD_S8_PS4_21rocsparse_index_base_SF_SF_bbb,"axG",@progbits,_ZN9rocsparseL37csrgeam_fill_numeric_multipass_kernelILj256ELj64Eli21rocsparse_complex_numIfEEEvllNS_24const_host_device_scalarIT3_EEPKT1_PKT2_PKS4_S5_S8_SB_SD_S8_PS4_21rocsparse_index_base_SF_SF_bbb,comdat
.Lfunc_end15:
	.size	_ZN9rocsparseL37csrgeam_fill_numeric_multipass_kernelILj256ELj64Eli21rocsparse_complex_numIfEEEvllNS_24const_host_device_scalarIT3_EEPKT1_PKT2_PKS4_S5_S8_SB_SD_S8_PS4_21rocsparse_index_base_SF_SF_bbb, .Lfunc_end15-_ZN9rocsparseL37csrgeam_fill_numeric_multipass_kernelILj256ELj64Eli21rocsparse_complex_numIfEEEvllNS_24const_host_device_scalarIT3_EEPKT1_PKT2_PKS4_S5_S8_SB_SD_S8_PS4_21rocsparse_index_base_SF_SF_bbb
                                        ; -- End function
	.set _ZN9rocsparseL37csrgeam_fill_numeric_multipass_kernelILj256ELj64Eli21rocsparse_complex_numIfEEEvllNS_24const_host_device_scalarIT3_EEPKT1_PKT2_PKS4_S5_S8_SB_SD_S8_PS4_21rocsparse_index_base_SF_SF_bbb.num_vgpr, 40
	.set _ZN9rocsparseL37csrgeam_fill_numeric_multipass_kernelILj256ELj64Eli21rocsparse_complex_numIfEEEvllNS_24const_host_device_scalarIT3_EEPKT1_PKT2_PKS4_S5_S8_SB_SD_S8_PS4_21rocsparse_index_base_SF_SF_bbb.num_agpr, 0
	.set _ZN9rocsparseL37csrgeam_fill_numeric_multipass_kernelILj256ELj64Eli21rocsparse_complex_numIfEEEvllNS_24const_host_device_scalarIT3_EEPKT1_PKT2_PKS4_S5_S8_SB_SD_S8_PS4_21rocsparse_index_base_SF_SF_bbb.numbered_sgpr, 32
	.set _ZN9rocsparseL37csrgeam_fill_numeric_multipass_kernelILj256ELj64Eli21rocsparse_complex_numIfEEEvllNS_24const_host_device_scalarIT3_EEPKT1_PKT2_PKS4_S5_S8_SB_SD_S8_PS4_21rocsparse_index_base_SF_SF_bbb.num_named_barrier, 0
	.set _ZN9rocsparseL37csrgeam_fill_numeric_multipass_kernelILj256ELj64Eli21rocsparse_complex_numIfEEEvllNS_24const_host_device_scalarIT3_EEPKT1_PKT2_PKS4_S5_S8_SB_SD_S8_PS4_21rocsparse_index_base_SF_SF_bbb.private_seg_size, 0
	.set _ZN9rocsparseL37csrgeam_fill_numeric_multipass_kernelILj256ELj64Eli21rocsparse_complex_numIfEEEvllNS_24const_host_device_scalarIT3_EEPKT1_PKT2_PKS4_S5_S8_SB_SD_S8_PS4_21rocsparse_index_base_SF_SF_bbb.uses_vcc, 1
	.set _ZN9rocsparseL37csrgeam_fill_numeric_multipass_kernelILj256ELj64Eli21rocsparse_complex_numIfEEEvllNS_24const_host_device_scalarIT3_EEPKT1_PKT2_PKS4_S5_S8_SB_SD_S8_PS4_21rocsparse_index_base_SF_SF_bbb.uses_flat_scratch, 0
	.set _ZN9rocsparseL37csrgeam_fill_numeric_multipass_kernelILj256ELj64Eli21rocsparse_complex_numIfEEEvllNS_24const_host_device_scalarIT3_EEPKT1_PKT2_PKS4_S5_S8_SB_SD_S8_PS4_21rocsparse_index_base_SF_SF_bbb.has_dyn_sized_stack, 0
	.set _ZN9rocsparseL37csrgeam_fill_numeric_multipass_kernelILj256ELj64Eli21rocsparse_complex_numIfEEEvllNS_24const_host_device_scalarIT3_EEPKT1_PKT2_PKS4_S5_S8_SB_SD_S8_PS4_21rocsparse_index_base_SF_SF_bbb.has_recursion, 0
	.set _ZN9rocsparseL37csrgeam_fill_numeric_multipass_kernelILj256ELj64Eli21rocsparse_complex_numIfEEEvllNS_24const_host_device_scalarIT3_EEPKT1_PKT2_PKS4_S5_S8_SB_SD_S8_PS4_21rocsparse_index_base_SF_SF_bbb.has_indirect_call, 0
	.section	.AMDGPU.csdata,"",@progbits
; Kernel info:
; codeLenInByte = 1764
; TotalNumSgprs: 34
; NumVgprs: 40
; ScratchSize: 0
; MemoryBound: 0
; FloatMode: 240
; IeeeMode: 1
; LDSByteSize: 2304 bytes/workgroup (compile time only)
; SGPRBlocks: 0
; VGPRBlocks: 2
; NumSGPRsForWavesPerEU: 34
; NumVGPRsForWavesPerEU: 40
; NamedBarCnt: 0
; Occupancy: 16
; WaveLimiterHint : 1
; COMPUTE_PGM_RSRC2:SCRATCH_EN: 0
; COMPUTE_PGM_RSRC2:USER_SGPR: 2
; COMPUTE_PGM_RSRC2:TRAP_HANDLER: 0
; COMPUTE_PGM_RSRC2:TGID_X_EN: 1
; COMPUTE_PGM_RSRC2:TGID_Y_EN: 0
; COMPUTE_PGM_RSRC2:TGID_Z_EN: 0
; COMPUTE_PGM_RSRC2:TIDIG_COMP_CNT: 0
	.section	.text._ZN9rocsparseL37csrgeam_fill_numeric_multipass_kernelILj256ELj32Ell21rocsparse_complex_numIfEEEvllNS_24const_host_device_scalarIT3_EEPKT1_PKT2_PKS4_S5_S8_SB_SD_S8_PS4_21rocsparse_index_base_SF_SF_bbb,"axG",@progbits,_ZN9rocsparseL37csrgeam_fill_numeric_multipass_kernelILj256ELj32Ell21rocsparse_complex_numIfEEEvllNS_24const_host_device_scalarIT3_EEPKT1_PKT2_PKS4_S5_S8_SB_SD_S8_PS4_21rocsparse_index_base_SF_SF_bbb,comdat
	.globl	_ZN9rocsparseL37csrgeam_fill_numeric_multipass_kernelILj256ELj32Ell21rocsparse_complex_numIfEEEvllNS_24const_host_device_scalarIT3_EEPKT1_PKT2_PKS4_S5_S8_SB_SD_S8_PS4_21rocsparse_index_base_SF_SF_bbb ; -- Begin function _ZN9rocsparseL37csrgeam_fill_numeric_multipass_kernelILj256ELj32Ell21rocsparse_complex_numIfEEEvllNS_24const_host_device_scalarIT3_EEPKT1_PKT2_PKS4_S5_S8_SB_SD_S8_PS4_21rocsparse_index_base_SF_SF_bbb
	.p2align	8
	.type	_ZN9rocsparseL37csrgeam_fill_numeric_multipass_kernelILj256ELj32Ell21rocsparse_complex_numIfEEEvllNS_24const_host_device_scalarIT3_EEPKT1_PKT2_PKS4_S5_S8_SB_SD_S8_PS4_21rocsparse_index_base_SF_SF_bbb,@function
_ZN9rocsparseL37csrgeam_fill_numeric_multipass_kernelILj256ELj32Ell21rocsparse_complex_numIfEEEvllNS_24const_host_device_scalarIT3_EEPKT1_PKT2_PKS4_S5_S8_SB_SD_S8_PS4_21rocsparse_index_base_SF_SF_bbb: ; @_ZN9rocsparseL37csrgeam_fill_numeric_multipass_kernelILj256ELj32Ell21rocsparse_complex_numIfEEEvllNS_24const_host_device_scalarIT3_EEPKT1_PKT2_PKS4_S5_S8_SB_SD_S8_PS4_21rocsparse_index_base_SF_SF_bbb
; %bb.0:
	s_clause 0x4
	s_load_b32 s28, s[0:1], 0x6c
	s_load_b128 s[12:15], s[0:1], 0x60
	s_load_b256 s[4:11], s[0:1], 0x0
	s_load_b64 s[30:31], s[0:1], 0x50
	s_load_b128 s[24:27], s[0:1], 0x30
	s_mov_b32 s3, 0
	s_wait_kmcnt 0x0
	s_bitcmp1_b32 s28, 16
	s_cselect_b32 s2, -1, 0
	s_delay_alu instid0(SALU_CYCLE_1) | instskip(SKIP_3) | instid1(VALU_DEP_1)
	s_xor_b32 s16, s2, -1
	s_bitcmp0_b32 s15, 0
	v_cndmask_b32_e64 v1, 0, 1, s16
	s_mov_b32 s2, s3
	v_cmp_ne_u32_e32 vcc_lo, 1, v1
	s_cbranch_scc1 .LBB16_6
; %bb.1:
	s_and_b32 vcc_lo, exec_lo, vcc_lo
	s_mov_b32 s2, s8
	s_cbranch_vccnz .LBB16_3
; %bb.2:
	s_load_b32 s2, s[8:9], 0x0
.LBB16_3:
	s_and_not1_b32 vcc_lo, exec_lo, s16
	s_cbranch_vccnz .LBB16_5
; %bb.4:
	s_wait_xcnt 0x0
	s_load_b32 s9, s[8:9], 0x4
.LBB16_5:
	s_wait_kmcnt 0x0
	s_mov_b32 s3, s9
.LBB16_6:
	s_clause 0x2
	s_load_b64 s[8:9], s[0:1], 0x58
	s_load_b128 s[16:19], s[0:1], 0x40
	s_load_b128 s[20:23], s[0:1], 0x20
	s_wait_xcnt 0x0
	s_bfe_u32 s0, s28, 0x10008
	s_mov_b32 s28, 0
	s_cmp_eq_u32 s0, 0
	s_mov_b32 s29, s28
	s_cbranch_scc1 .LBB16_12
; %bb.7:
	v_cmp_ne_u32_e32 vcc_lo, 1, v1
	s_mov_b32 s28, s24
	s_cbranch_vccnz .LBB16_9
; %bb.8:
	s_load_b32 s28, s[24:25], 0x0
.LBB16_9:
	v_cmp_ne_u32_e32 vcc_lo, 1, v1
	s_cbranch_vccnz .LBB16_11
; %bb.10:
	s_wait_xcnt 0x0
	s_load_b32 s25, s[24:25], 0x4
.LBB16_11:
	s_wait_kmcnt 0x0
	s_mov_b32 s29, s25
.LBB16_12:
	s_bfe_u32 s0, ttmp6, 0x4000c
	s_and_b32 s1, ttmp6, 15
	s_add_co_i32 s0, s0, 1
	s_getreg_b32 s15, hwreg(HW_REG_IB_STS2, 6, 4)
	s_mul_i32 s0, ttmp9, s0
	v_dual_lshrrev_b32 v1, 5, v0 :: v_dual_mov_b32 v11, 0
	s_add_co_i32 s1, s1, s0
	s_cmp_eq_u32 s15, 0
	s_cselect_b32 s0, ttmp9, s1
	s_delay_alu instid0(SALU_CYCLE_1) | instskip(NEXT) | instid1(SALU_CYCLE_1)
	s_lshl_b32 s0, s0, 3
	v_and_or_b32 v10, 0x7fffff8, s0, v1
	s_delay_alu instid0(VALU_DEP_1)
	v_cmp_gt_i64_e32 vcc_lo, s[4:5], v[10:11]
	s_mov_b32 s5, 0
	s_and_saveexec_b32 s0, vcc_lo
	s_cbranch_execz .LBB16_41
; %bb.13:
	v_lshlrev_b32_e32 v1, 3, v10
	s_mov_b32 s4, s12
	v_mov_b64_e32 v[14:15], s[6:7]
	s_mov_b32 s0, exec_lo
	global_load_b128 v[6:9], v1, s[10:11]
	global_load_b64 v[12:13], v10, s[30:31] scale_offset
	global_load_b128 v[2:5], v1, s[26:27]
	s_wait_loadcnt 0x2
	s_wait_xcnt 0x1
	v_sub_nc_u64_e64 v[10:11], v[6:7], s[4:5]
	s_wait_xcnt 0x0
	v_cmpx_lt_i64_e64 v[6:7], v[8:9]
	s_cbranch_execz .LBB16_15
; %bb.14:
	s_wait_kmcnt 0x0
	s_delay_alu instid0(VALU_DEP_2)
	v_lshl_add_u64 v[6:7], v[10:11], 3, s[20:21]
	global_load_b64 v[6:7], v[6:7], off
	s_wait_loadcnt 0x0
	v_sub_nc_u64_e64 v[14:15], v[6:7], s[4:5]
.LBB16_15:
	s_or_b32 exec_lo, exec_lo, s0
	s_mov_b32 s15, 0
	s_mov_b32 s10, s13
	;; [unrolled: 1-line block ×3, first 2 shown]
	v_mov_b64_e32 v[18:19], s[6:7]
	s_wait_loadcnt 0x0
	v_sub_nc_u64_e64 v[16:17], v[2:3], s[10:11]
	s_mov_b32 s0, exec_lo
	v_cmpx_lt_i64_e64 v[2:3], v[4:5]
	s_cbranch_execz .LBB16_17
; %bb.16:
	s_wait_kmcnt 0x0
	s_delay_alu instid0(VALU_DEP_2)
	v_lshl_add_u64 v[2:3], v[16:17], 3, s[16:17]
	global_load_b64 v[2:3], v[2:3], off
	s_wait_loadcnt 0x0
	v_sub_nc_u64_e64 v[18:19], v[2:3], s[10:11]
.LBB16_17:
	s_or_b32 exec_lo, exec_lo, s0
	v_and_b32_e32 v1, 0xe0, v0
	v_dual_mov_b32 v7, 0 :: v_dual_bitop2_b32 v6, 31, v0 bitop3:0x40
	v_sub_nc_u64_e64 v[2:3], v[8:9], s[4:5]
	v_sub_nc_u64_e64 v[8:9], v[12:13], s[14:15]
	s_delay_alu instid0(VALU_DEP_4)
	v_or_b32_e32 v26, 0x800, v1
	v_lshlrev_b32_e32 v27, 3, v1
	v_mbcnt_lo_u32_b32 v1, -1, 0
	v_add_nc_u64_e32 v[12:13], v[16:17], v[6:7]
	v_bitop3_b32 v0, v0, 31, v0 bitop3:0xc
	v_min_i64 v[14:15], v[18:19], v[14:15]
	v_sub_nc_u64_e64 v[4:5], v[4:5], s[10:11]
	v_xor_b32_e32 v16, 16, v1
	v_xor_b32_e32 v19, 1, v1
	v_lshrrev_b32_e64 v29, v0, -1
	v_xor_b32_e32 v18, 2, v1
	v_add_nc_u64_e32 v[10:11], v[10:11], v[6:7]
	v_cmp_gt_i32_e32 vcc_lo, 32, v16
	v_xor_b32_e32 v0, 8, v1
	v_lshl_or_b32 v28, v6, 3, v27
	v_dual_mov_b32 v36, 1 :: v_dual_add_nc_u32 v35, v26, v6
	v_cndmask_b32_e32 v16, v1, v16, vcc_lo
	s_delay_alu instid0(VALU_DEP_4)
	v_cmp_gt_i32_e32 vcc_lo, 32, v0
	v_xor_b32_e32 v17, 4, v1
	s_xor_b32 s12, s3, 0x80000000
	s_xor_b32 s24, s29, 0x80000000
	s_mov_b32 s13, s2
	v_cndmask_b32_e32 v0, v1, v0, vcc_lo
	v_cmp_gt_i32_e32 vcc_lo, 32, v17
	v_lshlrev_b32_e32 v30, 2, v16
	s_mov_b32 s25, s28
	s_wait_kmcnt 0x0
	s_add_nc_u64 s[22:23], s[22:23], 4
	s_add_nc_u64 s[18:19], s[18:19], 4
	v_cndmask_b32_e32 v17, v1, v17, vcc_lo
	v_cmp_gt_i32_e32 vcc_lo, 32, v18
	v_lshlrev_b32_e32 v31, 2, v0
	s_mov_b32 s1, 0
	s_delay_alu instid0(VALU_DEP_3) | instskip(SKIP_1) | instid1(VALU_DEP_2)
	v_dual_lshlrev_b32 v32, 2, v17 :: v_dual_cndmask_b32 v18, v1, v18, vcc_lo
	v_cmp_gt_i32_e32 vcc_lo, 32, v19
	v_dual_cndmask_b32 v1, v1, v19, vcc_lo :: v_dual_lshlrev_b32 v33, 2, v18
	s_delay_alu instid0(VALU_DEP_1)
	v_lshlrev_b32_e32 v34, 2, v1
	v_mov_b64_e32 v[0:1], 0
	s_branch .LBB16_19
.LBB16_18:                              ;   in Loop: Header=BB16_19 Depth=1
	s_wait_xcnt 0x0
	s_or_b32 exec_lo, exec_lo, s14
	ds_bpermute_b32 v14, v30, v16
	ds_bpermute_b32 v15, v30, v17
	s_bcnt1_i32_b32 s14, vcc_lo
	s_delay_alu instid0(SALU_CYCLE_1)
	v_add_nc_u64_e32 v[8:9], s[14:15], v[8:9]
	s_wait_dscnt 0x0
	v_min_i64 v[14:15], v[14:15], v[16:17]
	ds_bpermute_b32 v16, v31, v14
	ds_bpermute_b32 v17, v31, v15
	s_wait_dscnt 0x0
	v_min_i64 v[14:15], v[16:17], v[14:15]
	ds_bpermute_b32 v16, v32, v14
	ds_bpermute_b32 v17, v32, v15
	;; [unrolled: 4-line block ×4, first 2 shown]
	s_wait_dscnt 0x0
	v_min_i64 v[14:15], v[16:17], v[14:15]
	s_delay_alu instid0(VALU_DEP_1) | instskip(SKIP_1) | instid1(SALU_CYCLE_1)
	v_cmp_le_i64_e64 s0, s[6:7], v[14:15]
	s_or_b32 s1, s0, s1
	s_and_not1_b32 exec_lo, exec_lo, s1
	s_cbranch_execz .LBB16_41
.LBB16_19:                              ; =>This Loop Header: Depth=1
                                        ;     Child Loop BB16_22 Depth 2
                                        ;     Child Loop BB16_32 Depth 2
	v_mov_b64_e32 v[16:17], s[6:7]
	s_mov_b32 s14, exec_lo
	ds_store_b8 v35, v7
	ds_store_b64 v28, v[0:1]
	s_wait_dscnt 0x0
	v_cmpx_lt_i64_e64 v[10:11], v[2:3]
	s_cbranch_execz .LBB16_29
; %bb.20:                               ;   in Loop: Header=BB16_19 Depth=1
	v_lshlrev_b64_e32 v[16:17], 3, v[10:11]
	s_mov_b32 s26, 0
	s_delay_alu instid0(VALU_DEP_1)
	v_add_nc_u64_e32 v[18:19], s[20:21], v[16:17]
	v_add_nc_u64_e32 v[20:21], s[22:23], v[16:17]
	v_mov_b64_e32 v[16:17], s[6:7]
	s_branch .LBB16_22
.LBB16_21:                              ;   in Loop: Header=BB16_22 Depth=2
	s_or_b32 exec_lo, exec_lo, s27
	s_delay_alu instid0(SALU_CYCLE_1) | instskip(NEXT) | instid1(SALU_CYCLE_1)
	s_and_b32 s0, exec_lo, s0
	s_or_b32 s26, s0, s26
	s_delay_alu instid0(SALU_CYCLE_1)
	s_and_not1_b32 exec_lo, exec_lo, s26
	s_cbranch_execz .LBB16_28
.LBB16_22:                              ;   Parent Loop BB16_19 Depth=1
                                        ; =>  This Inner Loop Header: Depth=2
	global_load_b64 v[22:23], v[18:19], off
	s_wait_loadcnt 0x0
	v_sub_nc_u64_e64 v[24:25], v[22:23], s[4:5]
	s_delay_alu instid0(VALU_DEP_1) | instskip(NEXT) | instid1(VALU_DEP_1)
	v_sub_nc_u64_e32 v[22:23], v[24:25], v[14:15]
	v_cmp_lt_i64_e64 s0, 31, v[22:23]
	v_cmp_gt_i64_e32 vcc_lo, 32, v[22:23]
	s_wait_xcnt 0x0
	s_and_saveexec_b32 s27, s0
	s_delay_alu instid0(SALU_CYCLE_1)
	s_xor_b32 s0, exec_lo, s27
	s_cbranch_execnz .LBB16_25
; %bb.23:                               ;   in Loop: Header=BB16_22 Depth=2
	s_and_not1_saveexec_b32 s0, s0
	s_cbranch_execnz .LBB16_26
.LBB16_24:                              ;   in Loop: Header=BB16_22 Depth=2
	s_or_b32 exec_lo, exec_lo, s0
	s_mov_b32 s0, -1
	s_and_saveexec_b32 s27, vcc_lo
	s_cbranch_execz .LBB16_21
	s_branch .LBB16_27
.LBB16_25:                              ;   in Loop: Header=BB16_22 Depth=2
	v_min_i64 v[16:17], v[24:25], v[16:17]
                                        ; implicit-def: $vgpr22_vgpr23
	s_and_not1_saveexec_b32 s0, s0
	s_cbranch_execz .LBB16_24
.LBB16_26:                              ;   in Loop: Header=BB16_22 Depth=2
	global_load_b64 v[24:25], v[20:21], off offset:-4
	v_mov_b64_e32 v[38:39], s[12:13]
	v_mov_b64_e32 v[40:41], s[2:3]
	v_add_nc_u32_e32 v6, v26, v22
	v_lshl_add_u32 v37, v22, 3, v27
	s_wait_loadcnt 0x0
	s_delay_alu instid0(VALU_DEP_4) | instskip(NEXT) | instid1(VALU_DEP_1)
	v_pk_mul_f32 v[38:39], v[24:25], v[38:39] op_sel:[1,0]
	v_pk_fma_f32 v[22:23], v[40:41], v[24:25], v[38:39] op_sel_hi:[1,0,1]
	ds_store_b8 v6, v36
	ds_store_b64 v37, v[22:23]
	s_wait_xcnt 0x0
	s_or_b32 exec_lo, exec_lo, s0
	s_mov_b32 s0, -1
	s_and_saveexec_b32 s27, vcc_lo
	s_cbranch_execz .LBB16_21
.LBB16_27:                              ;   in Loop: Header=BB16_22 Depth=2
	v_add_nc_u64_e32 v[10:11], 32, v[10:11]
	v_add_nc_u64_e32 v[18:19], 0x100, v[18:19]
	;; [unrolled: 1-line block ×3, first 2 shown]
	s_delay_alu instid0(VALU_DEP_3)
	v_cmp_ge_i64_e32 vcc_lo, v[10:11], v[2:3]
	s_or_not1_b32 s0, vcc_lo, exec_lo
	s_branch .LBB16_21
.LBB16_28:                              ;   in Loop: Header=BB16_19 Depth=1
	s_or_b32 exec_lo, exec_lo, s26
.LBB16_29:                              ;   in Loop: Header=BB16_19 Depth=1
	s_delay_alu instid0(SALU_CYCLE_1) | instskip(NEXT) | instid1(SALU_CYCLE_1)
	s_or_b32 exec_lo, exec_lo, s14
	s_mov_b32 s14, exec_lo
	s_wait_dscnt 0x0
	v_cmpx_lt_i64_e64 v[12:13], v[4:5]
	s_cbranch_execz .LBB16_39
; %bb.30:                               ;   in Loop: Header=BB16_19 Depth=1
	v_lshlrev_b64_e32 v[20:21], 3, v[12:13]
	s_mov_b32 s26, 0
	s_delay_alu instid0(VALU_DEP_1)
	v_add_nc_u64_e32 v[18:19], s[16:17], v[20:21]
	v_add_nc_u64_e32 v[20:21], s[18:19], v[20:21]
	s_branch .LBB16_32
.LBB16_31:                              ;   in Loop: Header=BB16_32 Depth=2
	s_or_b32 exec_lo, exec_lo, s27
	s_delay_alu instid0(SALU_CYCLE_1) | instskip(NEXT) | instid1(SALU_CYCLE_1)
	s_and_b32 s0, exec_lo, s0
	s_or_b32 s26, s0, s26
	s_delay_alu instid0(SALU_CYCLE_1)
	s_and_not1_b32 exec_lo, exec_lo, s26
	s_cbranch_execz .LBB16_38
.LBB16_32:                              ;   Parent Loop BB16_19 Depth=1
                                        ; =>  This Inner Loop Header: Depth=2
	global_load_b64 v[22:23], v[18:19], off
	s_wait_loadcnt 0x0
	v_sub_nc_u64_e64 v[24:25], v[22:23], s[10:11]
	s_delay_alu instid0(VALU_DEP_1) | instskip(NEXT) | instid1(VALU_DEP_1)
	v_sub_nc_u64_e32 v[22:23], v[24:25], v[14:15]
	v_cmp_lt_i64_e64 s0, 31, v[22:23]
	v_cmp_gt_i64_e32 vcc_lo, 32, v[22:23]
	s_wait_xcnt 0x0
	s_and_saveexec_b32 s27, s0
	s_delay_alu instid0(SALU_CYCLE_1)
	s_xor_b32 s0, exec_lo, s27
	s_cbranch_execnz .LBB16_35
; %bb.33:                               ;   in Loop: Header=BB16_32 Depth=2
	s_and_not1_saveexec_b32 s0, s0
	s_cbranch_execnz .LBB16_36
.LBB16_34:                              ;   in Loop: Header=BB16_32 Depth=2
	s_or_b32 exec_lo, exec_lo, s0
	s_mov_b32 s0, -1
	s_and_saveexec_b32 s27, vcc_lo
	s_cbranch_execz .LBB16_31
	s_branch .LBB16_37
.LBB16_35:                              ;   in Loop: Header=BB16_32 Depth=2
	v_min_i64 v[16:17], v[24:25], v[16:17]
                                        ; implicit-def: $vgpr22_vgpr23
	s_and_not1_saveexec_b32 s0, s0
	s_cbranch_execz .LBB16_34
.LBB16_36:                              ;   in Loop: Header=BB16_32 Depth=2
	global_load_b64 v[24:25], v[20:21], off offset:-4
	v_lshl_add_u32 v6, v22, 3, v27
	v_mov_b64_e32 v[40:41], s[28:29]
	v_add_nc_u32_e32 v37, v26, v22
	ds_load_b64 v[38:39], v6
	s_wait_loadcnt_dscnt 0x0
	v_pk_fma_f32 v[38:39], v[40:41], v[24:25], v[38:39] op_sel_hi:[1,0,1]
	v_mov_b64_e32 v[40:41], s[24:25]
	s_delay_alu instid0(VALU_DEP_1)
	v_pk_fma_f32 v[22:23], v[40:41], v[24:25], v[38:39] op_sel:[0,1,0]
	ds_store_b8 v37, v36
	ds_store_b64 v6, v[22:23]
	s_wait_xcnt 0x0
	s_or_b32 exec_lo, exec_lo, s0
	s_mov_b32 s0, -1
	s_and_saveexec_b32 s27, vcc_lo
	s_cbranch_execz .LBB16_31
.LBB16_37:                              ;   in Loop: Header=BB16_32 Depth=2
	v_add_nc_u64_e32 v[12:13], 32, v[12:13]
	v_add_nc_u64_e32 v[18:19], 0x100, v[18:19]
	v_add_nc_u64_e32 v[20:21], 0x100, v[20:21]
	s_delay_alu instid0(VALU_DEP_3)
	v_cmp_ge_i64_e32 vcc_lo, v[12:13], v[4:5]
	s_or_not1_b32 s0, vcc_lo, exec_lo
	s_branch .LBB16_31
.LBB16_38:                              ;   in Loop: Header=BB16_19 Depth=1
	s_or_b32 exec_lo, exec_lo, s26
.LBB16_39:                              ;   in Loop: Header=BB16_19 Depth=1
	s_delay_alu instid0(SALU_CYCLE_1)
	s_or_b32 exec_lo, exec_lo, s14
	s_wait_dscnt 0x0
	ds_load_u8 v6, v35
	s_mov_b32 s14, exec_lo
	s_wait_dscnt 0x0
	v_and_b32_e32 v14, 1, v6
	v_cmp_ne_u16_e32 vcc_lo, 0, v6
	s_delay_alu instid0(VALU_DEP_2)
	v_cmpx_eq_u32_e32 1, v14
	s_cbranch_execz .LBB16_18
; %bb.40:                               ;   in Loop: Header=BB16_19 Depth=1
	v_and_b32_e32 v6, vcc_lo, v29
	ds_load_b64 v[14:15], v28
	v_lshl_add_u64 v[18:19], v[8:9], 3, s[8:9]
	v_bcnt_u32_b32 v6, v6, 0
	s_delay_alu instid0(VALU_DEP_1) | instskip(NEXT) | instid1(VALU_DEP_1)
	v_lshlrev_b32_e32 v6, 3, v6
	v_add_nc_u64_e32 v[18:19], v[18:19], v[6:7]
	s_wait_dscnt 0x0
	global_store_b64 v[18:19], v[14:15], off offset:-8
	s_branch .LBB16_18
.LBB16_41:
	s_endpgm
	.section	.rodata,"a",@progbits
	.p2align	6, 0x0
	.amdhsa_kernel _ZN9rocsparseL37csrgeam_fill_numeric_multipass_kernelILj256ELj32Ell21rocsparse_complex_numIfEEEvllNS_24const_host_device_scalarIT3_EEPKT1_PKT2_PKS4_S5_S8_SB_SD_S8_PS4_21rocsparse_index_base_SF_SF_bbb
		.amdhsa_group_segment_fixed_size 2304
		.amdhsa_private_segment_fixed_size 0
		.amdhsa_kernarg_size 112
		.amdhsa_user_sgpr_count 2
		.amdhsa_user_sgpr_dispatch_ptr 0
		.amdhsa_user_sgpr_queue_ptr 0
		.amdhsa_user_sgpr_kernarg_segment_ptr 1
		.amdhsa_user_sgpr_dispatch_id 0
		.amdhsa_user_sgpr_kernarg_preload_length 0
		.amdhsa_user_sgpr_kernarg_preload_offset 0
		.amdhsa_user_sgpr_private_segment_size 0
		.amdhsa_wavefront_size32 1
		.amdhsa_uses_dynamic_stack 0
		.amdhsa_enable_private_segment 0
		.amdhsa_system_sgpr_workgroup_id_x 1
		.amdhsa_system_sgpr_workgroup_id_y 0
		.amdhsa_system_sgpr_workgroup_id_z 0
		.amdhsa_system_sgpr_workgroup_info 0
		.amdhsa_system_vgpr_workitem_id 0
		.amdhsa_next_free_vgpr 42
		.amdhsa_next_free_sgpr 32
		.amdhsa_named_barrier_count 0
		.amdhsa_reserve_vcc 1
		.amdhsa_float_round_mode_32 0
		.amdhsa_float_round_mode_16_64 0
		.amdhsa_float_denorm_mode_32 3
		.amdhsa_float_denorm_mode_16_64 3
		.amdhsa_fp16_overflow 0
		.amdhsa_memory_ordered 1
		.amdhsa_forward_progress 1
		.amdhsa_inst_pref_size 14
		.amdhsa_round_robin_scheduling 0
		.amdhsa_exception_fp_ieee_invalid_op 0
		.amdhsa_exception_fp_denorm_src 0
		.amdhsa_exception_fp_ieee_div_zero 0
		.amdhsa_exception_fp_ieee_overflow 0
		.amdhsa_exception_fp_ieee_underflow 0
		.amdhsa_exception_fp_ieee_inexact 0
		.amdhsa_exception_int_div_zero 0
	.end_amdhsa_kernel
	.section	.text._ZN9rocsparseL37csrgeam_fill_numeric_multipass_kernelILj256ELj32Ell21rocsparse_complex_numIfEEEvllNS_24const_host_device_scalarIT3_EEPKT1_PKT2_PKS4_S5_S8_SB_SD_S8_PS4_21rocsparse_index_base_SF_SF_bbb,"axG",@progbits,_ZN9rocsparseL37csrgeam_fill_numeric_multipass_kernelILj256ELj32Ell21rocsparse_complex_numIfEEEvllNS_24const_host_device_scalarIT3_EEPKT1_PKT2_PKS4_S5_S8_SB_SD_S8_PS4_21rocsparse_index_base_SF_SF_bbb,comdat
.Lfunc_end16:
	.size	_ZN9rocsparseL37csrgeam_fill_numeric_multipass_kernelILj256ELj32Ell21rocsparse_complex_numIfEEEvllNS_24const_host_device_scalarIT3_EEPKT1_PKT2_PKS4_S5_S8_SB_SD_S8_PS4_21rocsparse_index_base_SF_SF_bbb, .Lfunc_end16-_ZN9rocsparseL37csrgeam_fill_numeric_multipass_kernelILj256ELj32Ell21rocsparse_complex_numIfEEEvllNS_24const_host_device_scalarIT3_EEPKT1_PKT2_PKS4_S5_S8_SB_SD_S8_PS4_21rocsparse_index_base_SF_SF_bbb
                                        ; -- End function
	.set _ZN9rocsparseL37csrgeam_fill_numeric_multipass_kernelILj256ELj32Ell21rocsparse_complex_numIfEEEvllNS_24const_host_device_scalarIT3_EEPKT1_PKT2_PKS4_S5_S8_SB_SD_S8_PS4_21rocsparse_index_base_SF_SF_bbb.num_vgpr, 42
	.set _ZN9rocsparseL37csrgeam_fill_numeric_multipass_kernelILj256ELj32Ell21rocsparse_complex_numIfEEEvllNS_24const_host_device_scalarIT3_EEPKT1_PKT2_PKS4_S5_S8_SB_SD_S8_PS4_21rocsparse_index_base_SF_SF_bbb.num_agpr, 0
	.set _ZN9rocsparseL37csrgeam_fill_numeric_multipass_kernelILj256ELj32Ell21rocsparse_complex_numIfEEEvllNS_24const_host_device_scalarIT3_EEPKT1_PKT2_PKS4_S5_S8_SB_SD_S8_PS4_21rocsparse_index_base_SF_SF_bbb.numbered_sgpr, 32
	.set _ZN9rocsparseL37csrgeam_fill_numeric_multipass_kernelILj256ELj32Ell21rocsparse_complex_numIfEEEvllNS_24const_host_device_scalarIT3_EEPKT1_PKT2_PKS4_S5_S8_SB_SD_S8_PS4_21rocsparse_index_base_SF_SF_bbb.num_named_barrier, 0
	.set _ZN9rocsparseL37csrgeam_fill_numeric_multipass_kernelILj256ELj32Ell21rocsparse_complex_numIfEEEvllNS_24const_host_device_scalarIT3_EEPKT1_PKT2_PKS4_S5_S8_SB_SD_S8_PS4_21rocsparse_index_base_SF_SF_bbb.private_seg_size, 0
	.set _ZN9rocsparseL37csrgeam_fill_numeric_multipass_kernelILj256ELj32Ell21rocsparse_complex_numIfEEEvllNS_24const_host_device_scalarIT3_EEPKT1_PKT2_PKS4_S5_S8_SB_SD_S8_PS4_21rocsparse_index_base_SF_SF_bbb.uses_vcc, 1
	.set _ZN9rocsparseL37csrgeam_fill_numeric_multipass_kernelILj256ELj32Ell21rocsparse_complex_numIfEEEvllNS_24const_host_device_scalarIT3_EEPKT1_PKT2_PKS4_S5_S8_SB_SD_S8_PS4_21rocsparse_index_base_SF_SF_bbb.uses_flat_scratch, 0
	.set _ZN9rocsparseL37csrgeam_fill_numeric_multipass_kernelILj256ELj32Ell21rocsparse_complex_numIfEEEvllNS_24const_host_device_scalarIT3_EEPKT1_PKT2_PKS4_S5_S8_SB_SD_S8_PS4_21rocsparse_index_base_SF_SF_bbb.has_dyn_sized_stack, 0
	.set _ZN9rocsparseL37csrgeam_fill_numeric_multipass_kernelILj256ELj32Ell21rocsparse_complex_numIfEEEvllNS_24const_host_device_scalarIT3_EEPKT1_PKT2_PKS4_S5_S8_SB_SD_S8_PS4_21rocsparse_index_base_SF_SF_bbb.has_recursion, 0
	.set _ZN9rocsparseL37csrgeam_fill_numeric_multipass_kernelILj256ELj32Ell21rocsparse_complex_numIfEEEvllNS_24const_host_device_scalarIT3_EEPKT1_PKT2_PKS4_S5_S8_SB_SD_S8_PS4_21rocsparse_index_base_SF_SF_bbb.has_indirect_call, 0
	.section	.AMDGPU.csdata,"",@progbits
; Kernel info:
; codeLenInByte = 1772
; TotalNumSgprs: 34
; NumVgprs: 42
; ScratchSize: 0
; MemoryBound: 0
; FloatMode: 240
; IeeeMode: 1
; LDSByteSize: 2304 bytes/workgroup (compile time only)
; SGPRBlocks: 0
; VGPRBlocks: 2
; NumSGPRsForWavesPerEU: 34
; NumVGPRsForWavesPerEU: 42
; NamedBarCnt: 0
; Occupancy: 16
; WaveLimiterHint : 1
; COMPUTE_PGM_RSRC2:SCRATCH_EN: 0
; COMPUTE_PGM_RSRC2:USER_SGPR: 2
; COMPUTE_PGM_RSRC2:TRAP_HANDLER: 0
; COMPUTE_PGM_RSRC2:TGID_X_EN: 1
; COMPUTE_PGM_RSRC2:TGID_Y_EN: 0
; COMPUTE_PGM_RSRC2:TGID_Z_EN: 0
; COMPUTE_PGM_RSRC2:TIDIG_COMP_CNT: 0
	.section	.text._ZN9rocsparseL37csrgeam_fill_numeric_multipass_kernelILj256ELj64Ell21rocsparse_complex_numIfEEEvllNS_24const_host_device_scalarIT3_EEPKT1_PKT2_PKS4_S5_S8_SB_SD_S8_PS4_21rocsparse_index_base_SF_SF_bbb,"axG",@progbits,_ZN9rocsparseL37csrgeam_fill_numeric_multipass_kernelILj256ELj64Ell21rocsparse_complex_numIfEEEvllNS_24const_host_device_scalarIT3_EEPKT1_PKT2_PKS4_S5_S8_SB_SD_S8_PS4_21rocsparse_index_base_SF_SF_bbb,comdat
	.globl	_ZN9rocsparseL37csrgeam_fill_numeric_multipass_kernelILj256ELj64Ell21rocsparse_complex_numIfEEEvllNS_24const_host_device_scalarIT3_EEPKT1_PKT2_PKS4_S5_S8_SB_SD_S8_PS4_21rocsparse_index_base_SF_SF_bbb ; -- Begin function _ZN9rocsparseL37csrgeam_fill_numeric_multipass_kernelILj256ELj64Ell21rocsparse_complex_numIfEEEvllNS_24const_host_device_scalarIT3_EEPKT1_PKT2_PKS4_S5_S8_SB_SD_S8_PS4_21rocsparse_index_base_SF_SF_bbb
	.p2align	8
	.type	_ZN9rocsparseL37csrgeam_fill_numeric_multipass_kernelILj256ELj64Ell21rocsparse_complex_numIfEEEvllNS_24const_host_device_scalarIT3_EEPKT1_PKT2_PKS4_S5_S8_SB_SD_S8_PS4_21rocsparse_index_base_SF_SF_bbb,@function
_ZN9rocsparseL37csrgeam_fill_numeric_multipass_kernelILj256ELj64Ell21rocsparse_complex_numIfEEEvllNS_24const_host_device_scalarIT3_EEPKT1_PKT2_PKS4_S5_S8_SB_SD_S8_PS4_21rocsparse_index_base_SF_SF_bbb: ; @_ZN9rocsparseL37csrgeam_fill_numeric_multipass_kernelILj256ELj64Ell21rocsparse_complex_numIfEEEvllNS_24const_host_device_scalarIT3_EEPKT1_PKT2_PKS4_S5_S8_SB_SD_S8_PS4_21rocsparse_index_base_SF_SF_bbb
; %bb.0:
	s_clause 0x4
	s_load_b32 s28, s[0:1], 0x6c
	s_load_b128 s[12:15], s[0:1], 0x60
	s_load_b256 s[4:11], s[0:1], 0x0
	s_load_b64 s[30:31], s[0:1], 0x50
	s_load_b128 s[24:27], s[0:1], 0x30
	s_mov_b32 s3, 0
	s_wait_kmcnt 0x0
	s_bitcmp1_b32 s28, 16
	s_cselect_b32 s2, -1, 0
	s_delay_alu instid0(SALU_CYCLE_1) | instskip(SKIP_3) | instid1(VALU_DEP_1)
	s_xor_b32 s16, s2, -1
	s_bitcmp0_b32 s15, 0
	v_cndmask_b32_e64 v1, 0, 1, s16
	s_mov_b32 s2, s3
	v_cmp_ne_u32_e32 vcc_lo, 1, v1
	s_cbranch_scc1 .LBB17_6
; %bb.1:
	s_and_b32 vcc_lo, exec_lo, vcc_lo
	s_mov_b32 s2, s8
	s_cbranch_vccnz .LBB17_3
; %bb.2:
	s_load_b32 s2, s[8:9], 0x0
.LBB17_3:
	s_and_not1_b32 vcc_lo, exec_lo, s16
	s_cbranch_vccnz .LBB17_5
; %bb.4:
	s_wait_xcnt 0x0
	s_load_b32 s9, s[8:9], 0x4
.LBB17_5:
	s_wait_kmcnt 0x0
	s_mov_b32 s3, s9
.LBB17_6:
	s_clause 0x2
	s_load_b64 s[8:9], s[0:1], 0x58
	s_load_b128 s[16:19], s[0:1], 0x40
	s_load_b128 s[20:23], s[0:1], 0x20
	s_wait_xcnt 0x0
	s_bfe_u32 s0, s28, 0x10008
	s_mov_b32 s28, 0
	s_cmp_eq_u32 s0, 0
	s_mov_b32 s29, s28
	s_cbranch_scc1 .LBB17_12
; %bb.7:
	v_cmp_ne_u32_e32 vcc_lo, 1, v1
	s_mov_b32 s28, s24
	s_cbranch_vccnz .LBB17_9
; %bb.8:
	s_load_b32 s28, s[24:25], 0x0
.LBB17_9:
	v_cmp_ne_u32_e32 vcc_lo, 1, v1
	s_cbranch_vccnz .LBB17_11
; %bb.10:
	s_wait_xcnt 0x0
	s_load_b32 s25, s[24:25], 0x4
.LBB17_11:
	s_wait_kmcnt 0x0
	s_mov_b32 s29, s25
.LBB17_12:
	s_bfe_u32 s0, ttmp6, 0x4000c
	s_and_b32 s1, ttmp6, 15
	s_add_co_i32 s0, s0, 1
	s_getreg_b32 s15, hwreg(HW_REG_IB_STS2, 6, 4)
	s_mul_i32 s0, ttmp9, s0
	v_dual_lshrrev_b32 v1, 6, v0 :: v_dual_mov_b32 v11, 0
	s_add_co_i32 s1, s1, s0
	s_cmp_eq_u32 s15, 0
	s_cselect_b32 s0, ttmp9, s1
	s_delay_alu instid0(SALU_CYCLE_1) | instskip(NEXT) | instid1(SALU_CYCLE_1)
	s_lshl_b32 s0, s0, 2
	v_and_or_b32 v10, 0x3fffffc, s0, v1
	s_delay_alu instid0(VALU_DEP_1)
	v_cmp_gt_i64_e32 vcc_lo, s[4:5], v[10:11]
	s_mov_b32 s5, 0
	s_and_saveexec_b32 s0, vcc_lo
	s_cbranch_execz .LBB17_41
; %bb.13:
	v_lshlrev_b32_e32 v1, 3, v10
	s_mov_b32 s4, s12
	v_mov_b64_e32 v[14:15], s[6:7]
	s_mov_b32 s0, exec_lo
	global_load_b128 v[6:9], v1, s[10:11]
	global_load_b64 v[12:13], v10, s[30:31] scale_offset
	global_load_b128 v[2:5], v1, s[26:27]
	s_wait_loadcnt 0x2
	s_wait_xcnt 0x1
	v_sub_nc_u64_e64 v[10:11], v[6:7], s[4:5]
	s_wait_xcnt 0x0
	v_cmpx_lt_i64_e64 v[6:7], v[8:9]
	s_cbranch_execz .LBB17_15
; %bb.14:
	s_wait_kmcnt 0x0
	s_delay_alu instid0(VALU_DEP_2)
	v_lshl_add_u64 v[6:7], v[10:11], 3, s[20:21]
	global_load_b64 v[6:7], v[6:7], off
	s_wait_loadcnt 0x0
	v_sub_nc_u64_e64 v[14:15], v[6:7], s[4:5]
.LBB17_15:
	s_or_b32 exec_lo, exec_lo, s0
	s_mov_b32 s15, 0
	s_mov_b32 s10, s13
	;; [unrolled: 1-line block ×3, first 2 shown]
	v_mov_b64_e32 v[16:17], s[6:7]
	s_wait_loadcnt 0x0
	v_sub_nc_u64_e64 v[18:19], v[2:3], s[10:11]
	s_mov_b32 s0, exec_lo
	v_cmpx_lt_i64_e64 v[2:3], v[4:5]
	s_cbranch_execz .LBB17_17
; %bb.16:
	s_wait_kmcnt 0x0
	s_delay_alu instid0(VALU_DEP_2)
	v_lshl_add_u64 v[2:3], v[18:19], 3, s[16:17]
	global_load_b64 v[2:3], v[2:3], off
	s_wait_loadcnt 0x0
	v_sub_nc_u64_e64 v[16:17], v[2:3], s[10:11]
.LBB17_17:
	s_or_b32 exec_lo, exec_lo, s0
	v_and_b32_e32 v1, 0xc0, v0
	v_mbcnt_lo_u32_b32 v20, -1, 0
	v_dual_mov_b32 v7, 0 :: v_dual_bitop2_b32 v6, 63, v0 bitop3:0x40
	v_bitop3_b32 v0, v0, 63, v0 bitop3:0xc
	s_delay_alu instid0(VALU_DEP_4) | instskip(NEXT) | instid1(VALU_DEP_4)
	v_or_b32_e32 v28, 0x800, v1
	v_dual_lshlrev_b32 v29, 3, v1 :: v_dual_bitop2_b32 v1, 32, v20 bitop3:0x54
	v_min_i64 v[16:17], v[16:17], v[14:15]
	v_sub_nc_u64_e64 v[2:3], v[8:9], s[4:5]
	v_sub_nc_u64_e64 v[8:9], v[12:13], s[14:15]
	v_add_nc_u64_e32 v[12:13], v[18:19], v[6:7]
	v_cmp_gt_i32_e32 vcc_lo, 32, v1
	v_sub_nc_u64_e64 v[4:5], v[4:5], s[10:11]
	v_add_nc_u64_e32 v[10:11], v[10:11], v[6:7]
	v_xor_b32_e32 v15, 16, v20
	v_lshl_or_b32 v30, v6, 3, v29
	v_cndmask_b32_e32 v14, v20, v1, vcc_lo
	v_lshrrev_b64 v[0:1], v0, -1
	v_mov_b32_e32 v37, 1
	v_cmp_gt_i32_e32 vcc_lo, 32, v15
	s_xor_b32 s12, s3, 0x80000000
	v_dual_lshlrev_b32 v1, 2, v14 :: v_dual_bitop2_b32 v14, 8, v20 bitop3:0x14
	s_xor_b32 s24, s29, 0x80000000
	v_dual_cndmask_b32 v15, v20, v15, vcc_lo :: v_dual_bitop2_b32 v18, 4, v20 bitop3:0x14
	s_mov_b32 s13, s2
	s_delay_alu instid0(VALU_DEP_2)
	v_cmp_gt_i32_e32 vcc_lo, 32, v14
	v_xor_b32_e32 v19, 2, v20
	s_mov_b32 s25, s28
	s_wait_kmcnt 0x0
	s_add_nc_u64 s[22:23], s[22:23], 4
	s_add_nc_u64 s[18:19], s[18:19], 4
	v_cndmask_b32_e32 v14, v20, v14, vcc_lo
	v_cmp_gt_i32_e32 vcc_lo, 32, v18
	v_dual_lshlrev_b32 v31, 2, v15 :: v_dual_bitop2_b32 v21, 1, v20 bitop3:0x14
	s_mov_b32 s1, 0
	s_delay_alu instid0(VALU_DEP_3)
	v_lshlrev_b32_e32 v32, 2, v14
	v_cndmask_b32_e32 v18, v20, v18, vcc_lo
	v_cmp_gt_i32_e32 vcc_lo, 32, v19
	v_mov_b64_e32 v[14:15], 0
	v_add_nc_u32_e32 v36, v28, v6
	v_cndmask_b32_e32 v19, v20, v19, vcc_lo
	v_cmp_gt_i32_e32 vcc_lo, 32, v21
	v_dual_cndmask_b32 v20, v20, v21 :: v_dual_lshlrev_b32 v33, 2, v18
	s_delay_alu instid0(VALU_DEP_1)
	v_dual_lshlrev_b32 v34, 2, v19 :: v_dual_lshlrev_b32 v35, 2, v20
	s_branch .LBB17_19
.LBB17_18:                              ;   in Loop: Header=BB17_19 Depth=1
	s_wait_xcnt 0x0
	s_or_b32 exec_lo, exec_lo, s14
	ds_bpermute_b32 v16, v1, v18
	ds_bpermute_b32 v17, v1, v19
	s_bcnt1_i32_b32 s14, vcc_lo
	s_delay_alu instid0(SALU_CYCLE_1)
	v_add_nc_u64_e32 v[8:9], s[14:15], v[8:9]
	s_wait_dscnt 0x0
	v_min_i64 v[16:17], v[16:17], v[18:19]
	ds_bpermute_b32 v18, v31, v16
	ds_bpermute_b32 v19, v31, v17
	s_wait_dscnt 0x0
	v_min_i64 v[16:17], v[18:19], v[16:17]
	ds_bpermute_b32 v18, v32, v16
	ds_bpermute_b32 v19, v32, v17
	;; [unrolled: 4-line block ×5, first 2 shown]
	s_wait_dscnt 0x0
	v_min_i64 v[16:17], v[18:19], v[16:17]
	s_delay_alu instid0(VALU_DEP_1) | instskip(SKIP_1) | instid1(SALU_CYCLE_1)
	v_cmp_le_i64_e64 s0, s[6:7], v[16:17]
	s_or_b32 s1, s0, s1
	s_and_not1_b32 exec_lo, exec_lo, s1
	s_cbranch_execz .LBB17_41
.LBB17_19:                              ; =>This Loop Header: Depth=1
                                        ;     Child Loop BB17_22 Depth 2
                                        ;     Child Loop BB17_32 Depth 2
	v_mov_b64_e32 v[18:19], s[6:7]
	s_mov_b32 s14, exec_lo
	ds_store_b8 v36, v7
	ds_store_b64 v30, v[14:15]
	s_wait_dscnt 0x0
	v_cmpx_lt_i64_e64 v[10:11], v[2:3]
	s_cbranch_execz .LBB17_29
; %bb.20:                               ;   in Loop: Header=BB17_19 Depth=1
	v_lshlrev_b64_e32 v[18:19], 3, v[10:11]
	s_mov_b32 s26, 0
	s_delay_alu instid0(VALU_DEP_1)
	v_add_nc_u64_e32 v[20:21], s[20:21], v[18:19]
	v_add_nc_u64_e32 v[22:23], s[22:23], v[18:19]
	v_mov_b64_e32 v[18:19], s[6:7]
	s_branch .LBB17_22
.LBB17_21:                              ;   in Loop: Header=BB17_22 Depth=2
	s_or_b32 exec_lo, exec_lo, s27
	s_delay_alu instid0(SALU_CYCLE_1) | instskip(NEXT) | instid1(SALU_CYCLE_1)
	s_and_b32 s0, exec_lo, s0
	s_or_b32 s26, s0, s26
	s_delay_alu instid0(SALU_CYCLE_1)
	s_and_not1_b32 exec_lo, exec_lo, s26
	s_cbranch_execz .LBB17_28
.LBB17_22:                              ;   Parent Loop BB17_19 Depth=1
                                        ; =>  This Inner Loop Header: Depth=2
	global_load_b64 v[24:25], v[20:21], off
	s_wait_loadcnt 0x0
	v_sub_nc_u64_e64 v[26:27], v[24:25], s[4:5]
	s_delay_alu instid0(VALU_DEP_1) | instskip(NEXT) | instid1(VALU_DEP_1)
	v_sub_nc_u64_e32 v[24:25], v[26:27], v[16:17]
	v_cmp_lt_i64_e64 s0, 63, v[24:25]
	v_cmp_gt_i64_e32 vcc_lo, 64, v[24:25]
	s_wait_xcnt 0x0
	s_and_saveexec_b32 s27, s0
	s_delay_alu instid0(SALU_CYCLE_1)
	s_xor_b32 s0, exec_lo, s27
	s_cbranch_execnz .LBB17_25
; %bb.23:                               ;   in Loop: Header=BB17_22 Depth=2
	s_and_not1_saveexec_b32 s0, s0
	s_cbranch_execnz .LBB17_26
.LBB17_24:                              ;   in Loop: Header=BB17_22 Depth=2
	s_or_b32 exec_lo, exec_lo, s0
	s_mov_b32 s0, -1
	s_and_saveexec_b32 s27, vcc_lo
	s_cbranch_execz .LBB17_21
	s_branch .LBB17_27
.LBB17_25:                              ;   in Loop: Header=BB17_22 Depth=2
	v_min_i64 v[18:19], v[26:27], v[18:19]
                                        ; implicit-def: $vgpr24_vgpr25
	s_and_not1_saveexec_b32 s0, s0
	s_cbranch_execz .LBB17_24
.LBB17_26:                              ;   in Loop: Header=BB17_22 Depth=2
	global_load_b64 v[26:27], v[22:23], off offset:-4
	v_mov_b64_e32 v[38:39], s[12:13]
	v_mov_b64_e32 v[40:41], s[2:3]
	v_add_nc_u32_e32 v6, v28, v24
	v_lshl_add_u32 v42, v24, 3, v29
	s_wait_loadcnt 0x0
	s_delay_alu instid0(VALU_DEP_4) | instskip(NEXT) | instid1(VALU_DEP_1)
	v_pk_mul_f32 v[38:39], v[26:27], v[38:39] op_sel:[1,0]
	v_pk_fma_f32 v[24:25], v[40:41], v[26:27], v[38:39] op_sel_hi:[1,0,1]
	ds_store_b8 v6, v37
	ds_store_b64 v42, v[24:25]
	s_wait_xcnt 0x0
	s_or_b32 exec_lo, exec_lo, s0
	s_mov_b32 s0, -1
	s_and_saveexec_b32 s27, vcc_lo
	s_cbranch_execz .LBB17_21
.LBB17_27:                              ;   in Loop: Header=BB17_22 Depth=2
	v_add_nc_u64_e32 v[10:11], 64, v[10:11]
	v_add_nc_u64_e32 v[20:21], 0x200, v[20:21]
	;; [unrolled: 1-line block ×3, first 2 shown]
	s_delay_alu instid0(VALU_DEP_3)
	v_cmp_ge_i64_e32 vcc_lo, v[10:11], v[2:3]
	s_or_not1_b32 s0, vcc_lo, exec_lo
	s_branch .LBB17_21
.LBB17_28:                              ;   in Loop: Header=BB17_19 Depth=1
	s_or_b32 exec_lo, exec_lo, s26
.LBB17_29:                              ;   in Loop: Header=BB17_19 Depth=1
	s_delay_alu instid0(SALU_CYCLE_1) | instskip(NEXT) | instid1(SALU_CYCLE_1)
	s_or_b32 exec_lo, exec_lo, s14
	s_mov_b32 s14, exec_lo
	s_wait_dscnt 0x0
	v_cmpx_lt_i64_e64 v[12:13], v[4:5]
	s_cbranch_execz .LBB17_39
; %bb.30:                               ;   in Loop: Header=BB17_19 Depth=1
	v_lshlrev_b64_e32 v[22:23], 3, v[12:13]
	s_mov_b32 s26, 0
	s_delay_alu instid0(VALU_DEP_1)
	v_add_nc_u64_e32 v[20:21], s[16:17], v[22:23]
	v_add_nc_u64_e32 v[22:23], s[18:19], v[22:23]
	s_branch .LBB17_32
.LBB17_31:                              ;   in Loop: Header=BB17_32 Depth=2
	s_or_b32 exec_lo, exec_lo, s27
	s_delay_alu instid0(SALU_CYCLE_1) | instskip(NEXT) | instid1(SALU_CYCLE_1)
	s_and_b32 s0, exec_lo, s0
	s_or_b32 s26, s0, s26
	s_delay_alu instid0(SALU_CYCLE_1)
	s_and_not1_b32 exec_lo, exec_lo, s26
	s_cbranch_execz .LBB17_38
.LBB17_32:                              ;   Parent Loop BB17_19 Depth=1
                                        ; =>  This Inner Loop Header: Depth=2
	global_load_b64 v[24:25], v[20:21], off
	s_wait_loadcnt 0x0
	v_sub_nc_u64_e64 v[26:27], v[24:25], s[10:11]
	s_delay_alu instid0(VALU_DEP_1) | instskip(NEXT) | instid1(VALU_DEP_1)
	v_sub_nc_u64_e32 v[24:25], v[26:27], v[16:17]
	v_cmp_lt_i64_e64 s0, 63, v[24:25]
	v_cmp_gt_i64_e32 vcc_lo, 64, v[24:25]
	s_wait_xcnt 0x0
	s_and_saveexec_b32 s27, s0
	s_delay_alu instid0(SALU_CYCLE_1)
	s_xor_b32 s0, exec_lo, s27
	s_cbranch_execnz .LBB17_35
; %bb.33:                               ;   in Loop: Header=BB17_32 Depth=2
	s_and_not1_saveexec_b32 s0, s0
	s_cbranch_execnz .LBB17_36
.LBB17_34:                              ;   in Loop: Header=BB17_32 Depth=2
	s_or_b32 exec_lo, exec_lo, s0
	s_mov_b32 s0, -1
	s_and_saveexec_b32 s27, vcc_lo
	s_cbranch_execz .LBB17_31
	s_branch .LBB17_37
.LBB17_35:                              ;   in Loop: Header=BB17_32 Depth=2
	v_min_i64 v[18:19], v[26:27], v[18:19]
                                        ; implicit-def: $vgpr24_vgpr25
	s_and_not1_saveexec_b32 s0, s0
	s_cbranch_execz .LBB17_34
.LBB17_36:                              ;   in Loop: Header=BB17_32 Depth=2
	global_load_b64 v[26:27], v[22:23], off offset:-4
	v_lshl_add_u32 v6, v24, 3, v29
	v_mov_b64_e32 v[40:41], s[28:29]
	v_add_nc_u32_e32 v42, v28, v24
	ds_load_b64 v[38:39], v6
	s_wait_loadcnt_dscnt 0x0
	v_pk_fma_f32 v[38:39], v[40:41], v[26:27], v[38:39] op_sel_hi:[1,0,1]
	v_mov_b64_e32 v[40:41], s[24:25]
	s_delay_alu instid0(VALU_DEP_1)
	v_pk_fma_f32 v[24:25], v[40:41], v[26:27], v[38:39] op_sel:[0,1,0]
	ds_store_b8 v42, v37
	ds_store_b64 v6, v[24:25]
	s_wait_xcnt 0x0
	s_or_b32 exec_lo, exec_lo, s0
	s_mov_b32 s0, -1
	s_and_saveexec_b32 s27, vcc_lo
	s_cbranch_execz .LBB17_31
.LBB17_37:                              ;   in Loop: Header=BB17_32 Depth=2
	v_add_nc_u64_e32 v[12:13], 64, v[12:13]
	v_add_nc_u64_e32 v[20:21], 0x200, v[20:21]
	v_add_nc_u64_e32 v[22:23], 0x200, v[22:23]
	s_delay_alu instid0(VALU_DEP_3)
	v_cmp_ge_i64_e32 vcc_lo, v[12:13], v[4:5]
	s_or_not1_b32 s0, vcc_lo, exec_lo
	s_branch .LBB17_31
.LBB17_38:                              ;   in Loop: Header=BB17_19 Depth=1
	s_or_b32 exec_lo, exec_lo, s26
.LBB17_39:                              ;   in Loop: Header=BB17_19 Depth=1
	s_delay_alu instid0(SALU_CYCLE_1)
	s_or_b32 exec_lo, exec_lo, s14
	s_wait_dscnt 0x0
	ds_load_u8 v6, v36
	s_mov_b32 s14, exec_lo
	s_wait_dscnt 0x0
	v_and_b32_e32 v16, 1, v6
	v_cmp_ne_u16_e32 vcc_lo, 0, v6
	s_delay_alu instid0(VALU_DEP_2)
	v_cmpx_eq_u32_e32 1, v16
	s_cbranch_execz .LBB17_18
; %bb.40:                               ;   in Loop: Header=BB17_19 Depth=1
	v_and_b32_e32 v6, vcc_lo, v0
	ds_load_b64 v[16:17], v30
	v_lshl_add_u64 v[20:21], v[8:9], 3, s[8:9]
	v_bcnt_u32_b32 v6, v6, 0
	s_delay_alu instid0(VALU_DEP_1) | instskip(NEXT) | instid1(VALU_DEP_1)
	v_lshlrev_b32_e32 v6, 3, v6
	v_add_nc_u64_e32 v[20:21], v[20:21], v[6:7]
	s_wait_dscnt 0x0
	global_store_b64 v[20:21], v[16:17], off offset:-8
	s_branch .LBB17_18
.LBB17_41:
	s_endpgm
	.section	.rodata,"a",@progbits
	.p2align	6, 0x0
	.amdhsa_kernel _ZN9rocsparseL37csrgeam_fill_numeric_multipass_kernelILj256ELj64Ell21rocsparse_complex_numIfEEEvllNS_24const_host_device_scalarIT3_EEPKT1_PKT2_PKS4_S5_S8_SB_SD_S8_PS4_21rocsparse_index_base_SF_SF_bbb
		.amdhsa_group_segment_fixed_size 2304
		.amdhsa_private_segment_fixed_size 0
		.amdhsa_kernarg_size 112
		.amdhsa_user_sgpr_count 2
		.amdhsa_user_sgpr_dispatch_ptr 0
		.amdhsa_user_sgpr_queue_ptr 0
		.amdhsa_user_sgpr_kernarg_segment_ptr 1
		.amdhsa_user_sgpr_dispatch_id 0
		.amdhsa_user_sgpr_kernarg_preload_length 0
		.amdhsa_user_sgpr_kernarg_preload_offset 0
		.amdhsa_user_sgpr_private_segment_size 0
		.amdhsa_wavefront_size32 1
		.amdhsa_uses_dynamic_stack 0
		.amdhsa_enable_private_segment 0
		.amdhsa_system_sgpr_workgroup_id_x 1
		.amdhsa_system_sgpr_workgroup_id_y 0
		.amdhsa_system_sgpr_workgroup_id_z 0
		.amdhsa_system_sgpr_workgroup_info 0
		.amdhsa_system_vgpr_workitem_id 0
		.amdhsa_next_free_vgpr 43
		.amdhsa_next_free_sgpr 32
		.amdhsa_named_barrier_count 0
		.amdhsa_reserve_vcc 1
		.amdhsa_float_round_mode_32 0
		.amdhsa_float_round_mode_16_64 0
		.amdhsa_float_denorm_mode_32 3
		.amdhsa_float_denorm_mode_16_64 3
		.amdhsa_fp16_overflow 0
		.amdhsa_memory_ordered 1
		.amdhsa_forward_progress 1
		.amdhsa_inst_pref_size 15
		.amdhsa_round_robin_scheduling 0
		.amdhsa_exception_fp_ieee_invalid_op 0
		.amdhsa_exception_fp_denorm_src 0
		.amdhsa_exception_fp_ieee_div_zero 0
		.amdhsa_exception_fp_ieee_overflow 0
		.amdhsa_exception_fp_ieee_underflow 0
		.amdhsa_exception_fp_ieee_inexact 0
		.amdhsa_exception_int_div_zero 0
	.end_amdhsa_kernel
	.section	.text._ZN9rocsparseL37csrgeam_fill_numeric_multipass_kernelILj256ELj64Ell21rocsparse_complex_numIfEEEvllNS_24const_host_device_scalarIT3_EEPKT1_PKT2_PKS4_S5_S8_SB_SD_S8_PS4_21rocsparse_index_base_SF_SF_bbb,"axG",@progbits,_ZN9rocsparseL37csrgeam_fill_numeric_multipass_kernelILj256ELj64Ell21rocsparse_complex_numIfEEEvllNS_24const_host_device_scalarIT3_EEPKT1_PKT2_PKS4_S5_S8_SB_SD_S8_PS4_21rocsparse_index_base_SF_SF_bbb,comdat
.Lfunc_end17:
	.size	_ZN9rocsparseL37csrgeam_fill_numeric_multipass_kernelILj256ELj64Ell21rocsparse_complex_numIfEEEvllNS_24const_host_device_scalarIT3_EEPKT1_PKT2_PKS4_S5_S8_SB_SD_S8_PS4_21rocsparse_index_base_SF_SF_bbb, .Lfunc_end17-_ZN9rocsparseL37csrgeam_fill_numeric_multipass_kernelILj256ELj64Ell21rocsparse_complex_numIfEEEvllNS_24const_host_device_scalarIT3_EEPKT1_PKT2_PKS4_S5_S8_SB_SD_S8_PS4_21rocsparse_index_base_SF_SF_bbb
                                        ; -- End function
	.set _ZN9rocsparseL37csrgeam_fill_numeric_multipass_kernelILj256ELj64Ell21rocsparse_complex_numIfEEEvllNS_24const_host_device_scalarIT3_EEPKT1_PKT2_PKS4_S5_S8_SB_SD_S8_PS4_21rocsparse_index_base_SF_SF_bbb.num_vgpr, 43
	.set _ZN9rocsparseL37csrgeam_fill_numeric_multipass_kernelILj256ELj64Ell21rocsparse_complex_numIfEEEvllNS_24const_host_device_scalarIT3_EEPKT1_PKT2_PKS4_S5_S8_SB_SD_S8_PS4_21rocsparse_index_base_SF_SF_bbb.num_agpr, 0
	.set _ZN9rocsparseL37csrgeam_fill_numeric_multipass_kernelILj256ELj64Ell21rocsparse_complex_numIfEEEvllNS_24const_host_device_scalarIT3_EEPKT1_PKT2_PKS4_S5_S8_SB_SD_S8_PS4_21rocsparse_index_base_SF_SF_bbb.numbered_sgpr, 32
	.set _ZN9rocsparseL37csrgeam_fill_numeric_multipass_kernelILj256ELj64Ell21rocsparse_complex_numIfEEEvllNS_24const_host_device_scalarIT3_EEPKT1_PKT2_PKS4_S5_S8_SB_SD_S8_PS4_21rocsparse_index_base_SF_SF_bbb.num_named_barrier, 0
	.set _ZN9rocsparseL37csrgeam_fill_numeric_multipass_kernelILj256ELj64Ell21rocsparse_complex_numIfEEEvllNS_24const_host_device_scalarIT3_EEPKT1_PKT2_PKS4_S5_S8_SB_SD_S8_PS4_21rocsparse_index_base_SF_SF_bbb.private_seg_size, 0
	.set _ZN9rocsparseL37csrgeam_fill_numeric_multipass_kernelILj256ELj64Ell21rocsparse_complex_numIfEEEvllNS_24const_host_device_scalarIT3_EEPKT1_PKT2_PKS4_S5_S8_SB_SD_S8_PS4_21rocsparse_index_base_SF_SF_bbb.uses_vcc, 1
	.set _ZN9rocsparseL37csrgeam_fill_numeric_multipass_kernelILj256ELj64Ell21rocsparse_complex_numIfEEEvllNS_24const_host_device_scalarIT3_EEPKT1_PKT2_PKS4_S5_S8_SB_SD_S8_PS4_21rocsparse_index_base_SF_SF_bbb.uses_flat_scratch, 0
	.set _ZN9rocsparseL37csrgeam_fill_numeric_multipass_kernelILj256ELj64Ell21rocsparse_complex_numIfEEEvllNS_24const_host_device_scalarIT3_EEPKT1_PKT2_PKS4_S5_S8_SB_SD_S8_PS4_21rocsparse_index_base_SF_SF_bbb.has_dyn_sized_stack, 0
	.set _ZN9rocsparseL37csrgeam_fill_numeric_multipass_kernelILj256ELj64Ell21rocsparse_complex_numIfEEEvllNS_24const_host_device_scalarIT3_EEPKT1_PKT2_PKS4_S5_S8_SB_SD_S8_PS4_21rocsparse_index_base_SF_SF_bbb.has_recursion, 0
	.set _ZN9rocsparseL37csrgeam_fill_numeric_multipass_kernelILj256ELj64Ell21rocsparse_complex_numIfEEEvllNS_24const_host_device_scalarIT3_EEPKT1_PKT2_PKS4_S5_S8_SB_SD_S8_PS4_21rocsparse_index_base_SF_SF_bbb.has_indirect_call, 0
	.section	.AMDGPU.csdata,"",@progbits
; Kernel info:
; codeLenInByte = 1828
; TotalNumSgprs: 34
; NumVgprs: 43
; ScratchSize: 0
; MemoryBound: 0
; FloatMode: 240
; IeeeMode: 1
; LDSByteSize: 2304 bytes/workgroup (compile time only)
; SGPRBlocks: 0
; VGPRBlocks: 2
; NumSGPRsForWavesPerEU: 34
; NumVGPRsForWavesPerEU: 43
; NamedBarCnt: 0
; Occupancy: 16
; WaveLimiterHint : 1
; COMPUTE_PGM_RSRC2:SCRATCH_EN: 0
; COMPUTE_PGM_RSRC2:USER_SGPR: 2
; COMPUTE_PGM_RSRC2:TRAP_HANDLER: 0
; COMPUTE_PGM_RSRC2:TGID_X_EN: 1
; COMPUTE_PGM_RSRC2:TGID_Y_EN: 0
; COMPUTE_PGM_RSRC2:TGID_Z_EN: 0
; COMPUTE_PGM_RSRC2:TIDIG_COMP_CNT: 0
	.section	.text._ZN9rocsparseL37csrgeam_fill_numeric_multipass_kernelILj256ELj32Eii21rocsparse_complex_numIdEEEvllNS_24const_host_device_scalarIT3_EEPKT1_PKT2_PKS4_S5_S8_SB_SD_S8_PS4_21rocsparse_index_base_SF_SF_bbb,"axG",@progbits,_ZN9rocsparseL37csrgeam_fill_numeric_multipass_kernelILj256ELj32Eii21rocsparse_complex_numIdEEEvllNS_24const_host_device_scalarIT3_EEPKT1_PKT2_PKS4_S5_S8_SB_SD_S8_PS4_21rocsparse_index_base_SF_SF_bbb,comdat
	.globl	_ZN9rocsparseL37csrgeam_fill_numeric_multipass_kernelILj256ELj32Eii21rocsparse_complex_numIdEEEvllNS_24const_host_device_scalarIT3_EEPKT1_PKT2_PKS4_S5_S8_SB_SD_S8_PS4_21rocsparse_index_base_SF_SF_bbb ; -- Begin function _ZN9rocsparseL37csrgeam_fill_numeric_multipass_kernelILj256ELj32Eii21rocsparse_complex_numIdEEEvllNS_24const_host_device_scalarIT3_EEPKT1_PKT2_PKS4_S5_S8_SB_SD_S8_PS4_21rocsparse_index_base_SF_SF_bbb
	.p2align	8
	.type	_ZN9rocsparseL37csrgeam_fill_numeric_multipass_kernelILj256ELj32Eii21rocsparse_complex_numIdEEEvllNS_24const_host_device_scalarIT3_EEPKT1_PKT2_PKS4_S5_S8_SB_SD_S8_PS4_21rocsparse_index_base_SF_SF_bbb,@function
_ZN9rocsparseL37csrgeam_fill_numeric_multipass_kernelILj256ELj32Eii21rocsparse_complex_numIdEEEvllNS_24const_host_device_scalarIT3_EEPKT1_PKT2_PKS4_S5_S8_SB_SD_S8_PS4_21rocsparse_index_base_SF_SF_bbb: ; @_ZN9rocsparseL37csrgeam_fill_numeric_multipass_kernelILj256ELj32Eii21rocsparse_complex_numIdEEEvllNS_24const_host_device_scalarIT3_EEPKT1_PKT2_PKS4_S5_S8_SB_SD_S8_PS4_21rocsparse_index_base_SF_SF_bbb
; %bb.0:
	s_clause 0x3
	s_load_b32 s20, s[0:1], 0x7c
	s_load_b256 s[4:11], s[0:1], 0x0
	s_load_b128 s[16:19], s[0:1], 0x38
	s_load_b128 s[12:15], s[0:1], 0x70
	v_mov_b64_e32 v[6:7], 0
	v_mov_b64_e32 v[4:5], 0
	;; [unrolled: 1-line block ×3, first 2 shown]
	v_mbcnt_lo_u32_b32 v1, -1, 0
	s_wait_kmcnt 0x0
	s_bitcmp1_b32 s20, 16
	v_mov_b64_e32 v[2:3], s[8:9]
	s_cselect_b32 s2, -1, 0
	v_mov_b64_e32 v[10:11], s[16:17]
	s_xor_b32 s3, s2, -1
	s_bitcmp0_b32 s15, 0
	v_cndmask_b32_e64 v12, 0, 1, s3
	s_clause 0x1
	scratch_store_b64 off, v[2:3], off
	scratch_store_b64 off, v[10:11], off offset:8
	v_cmp_ne_u32_e32 vcc_lo, 1, v12
	s_cbranch_scc1 .LBB18_3
; %bb.1:
	s_wait_xcnt 0x1
	v_dual_mov_b32 v2, 0 :: v_dual_lshlrev_b32 v3, 20, v1
	v_mov_b64_e32 v[8:9], s[10:11]
	s_and_b32 vcc_lo, exec_lo, vcc_lo
	s_delay_alu instid0(VALU_DEP_2) | instskip(NEXT) | instid1(VALU_DEP_1)
	v_add_nc_u64_e32 v[2:3], src_flat_scratch_base_lo, v[2:3]
	v_cndmask_b32_e64 v3, s9, v3, s2
	s_delay_alu instid0(VALU_DEP_2)
	v_cndmask_b32_e64 v2, s8, v2, s2
	flat_load_b64 v[4:5], v[2:3]
	s_cbranch_vccnz .LBB18_3
; %bb.2:
	s_wait_xcnt 0x0
	v_mov_b32_e32 v2, 0
	flat_load_b64 v[8:9], v2, s[8:9] offset:8
.LBB18_3:
	s_wait_xcnt 0x0
	v_mov_b64_e32 v[10:11], 0
	s_bfe_u32 s8, s20, 0x10008
	s_delay_alu instid0(SALU_CYCLE_1)
	s_cmp_eq_u32 s8, 0
	s_cbranch_scc1 .LBB18_6
; %bb.4:
	v_dual_mov_b32 v2, 8 :: v_dual_lshlrev_b32 v3, 20, v1
	v_mov_b64_e32 v[6:7], s[18:19]
	s_and_not1_b32 vcc_lo, exec_lo, s3
	s_delay_alu instid0(VALU_DEP_2) | instskip(NEXT) | instid1(VALU_DEP_1)
	v_add_nc_u64_e32 v[2:3], src_flat_scratch_base_lo, v[2:3]
	v_cndmask_b32_e64 v3, s17, v3, s2
	s_delay_alu instid0(VALU_DEP_2)
	v_cndmask_b32_e64 v2, s16, v2, s2
	flat_load_b64 v[10:11], v[2:3]
	s_cbranch_vccnz .LBB18_6
; %bb.5:
	s_wait_xcnt 0x0
	v_mov_b32_e32 v2, 0
	flat_load_b64 v[6:7], v2, s[16:17] offset:8
.LBB18_6:
	s_bfe_u32 s2, ttmp6, 0x4000c
	s_and_b32 s3, ttmp6, 15
	s_add_co_i32 s2, s2, 1
	s_getreg_b32 s8, hwreg(HW_REG_IB_STS2, 6, 4)
	s_mul_i32 s2, ttmp9, s2
	s_wait_xcnt 0x0
	v_dual_mov_b32 v15, 0 :: v_dual_lshrrev_b32 v2, 5, v0
	s_add_co_i32 s3, s3, s2
	s_cmp_eq_u32 s8, 0
	s_cselect_b32 s2, ttmp9, s3
	s_delay_alu instid0(SALU_CYCLE_1) | instskip(NEXT) | instid1(SALU_CYCLE_1)
	s_lshl_b32 s2, s2, 3
	v_and_or_b32 v14, 0x7fffff8, s2, v2
	s_mov_b32 s2, exec_lo
	s_delay_alu instid0(VALU_DEP_1)
	v_cmpx_gt_i64_e64 s[4:5], v[14:15]
	s_cbranch_execz .LBB18_37
; %bb.7:
	s_clause 0x2
	s_load_b128 s[8:11], s[0:1], 0x20
	s_load_b64 s[2:3], s[0:1], 0x48
	s_load_b64 s[4:5], s[0:1], 0x60
	v_lshlrev_b32_e32 v16, 2, v14
	s_wait_kmcnt 0x0
	s_clause 0x1
	global_load_b64 v[12:13], v16, s[8:9]
	global_load_b64 v[2:3], v16, s[2:3]
	global_load_b32 v15, v14, s[4:5] scale_offset
	s_wait_xcnt 0x1
	s_mov_b32 s2, exec_lo
	s_wait_loadcnt 0x2
	s_wait_xcnt 0x0
	v_cmpx_ge_i32_e64 v12, v13
	s_xor_b32 s2, exec_lo, s2
	s_delay_alu instid0(SALU_CYCLE_1)
	s_or_saveexec_b32 s2, s2
	v_subrev_nc_u32_e32 v12, s12, v12
	v_mov_b32_e32 v14, s6
	s_xor_b32 exec_lo, exec_lo, s2
	s_cbranch_execz .LBB18_9
; %bb.8:
	global_load_b32 v14, v12, s[10:11] scale_offset
	s_wait_loadcnt 0x0
	v_subrev_nc_u32_e32 v14, s12, v14
.LBB18_9:
	s_wait_xcnt 0x0
	s_or_b32 exec_lo, exec_lo, s2
	s_load_b64 s[2:3], s[0:1], 0x50
	v_mov_b32_e32 v18, s6
	s_mov_b32 s4, exec_lo
	s_wait_loadcnt 0x1
	v_cmpx_ge_i32_e64 v2, v3
	s_xor_b32 s4, exec_lo, s4
; %bb.10:
	v_mov_b32_e32 v18, s6
; %bb.11:
	s_or_saveexec_b32 s8, s4
	s_load_b64 s[4:5], s[0:1], 0x68
	v_subrev_nc_u32_e32 v2, s13, v2
	s_delay_alu instid0(VALU_DEP_2)
	v_mov_b32_e32 v16, v18
	s_xor_b32 exec_lo, exec_lo, s8
	s_cbranch_execz .LBB18_13
; %bb.12:
	s_wait_kmcnt 0x0
	global_load_b32 v16, v2, s[2:3] scale_offset
	s_wait_loadcnt 0x0
	v_subrev_nc_u32_e32 v16, s13, v16
.LBB18_13:
	s_wait_xcnt 0x0
	s_or_b32 exec_lo, exec_lo, s8
	v_and_b32_e32 v17, 0xe0, v0
	v_subrev_nc_u32_e32 v19, s12, v13
	v_subrev_nc_u32_e32 v22, s13, v3
	v_min_i32_e32 v16, v16, v14
	s_clause 0x1
	s_load_b64 s[8:9], s[0:1], 0x58
	s_load_b64 s[16:17], s[0:1], 0x30
	v_dual_lshlrev_b32 v21, 4, v17 :: v_dual_bitop2_b32 v13, 31, v0 bitop3:0x40
	v_bitop3_b32 v0, v0, 31, v0 bitop3:0xc
	v_or_b32_e32 v20, 0x1000, v17
	s_wait_loadcnt 0x0
	v_subrev_nc_u32_e32 v23, s14, v15
	v_dual_mov_b32 v32, 1 :: v_dual_add_nc_u32 v12, v12, v13
	v_add_nc_u32_e32 v14, v2, v13
	v_xor_b32_e32 v2, 8, v1
	v_xor_b32_e32 v3, 16, v1
	v_lshrrev_b32_e64 v25, v0, -1
	v_lshl_or_b32 v24, v13, 4, v21
	v_add_nc_u32_e32 v31, v20, v13
	s_wait_xcnt 0x0
	s_mov_b32 s1, 0
	v_cmp_gt_i32_e32 vcc_lo, 32, v3
	v_cndmask_b32_e32 v3, v1, v3, vcc_lo
	s_delay_alu instid0(VALU_DEP_1) | instskip(SKIP_3) | instid1(VALU_DEP_3)
	v_dual_lshlrev_b32 v26, 2, v3 :: v_dual_bitop2_b32 v3, 2, v1 bitop3:0x14
	v_xor_b32_e32 v0, 4, v1
	v_cmp_gt_i32_e32 vcc_lo, 32, v2
	v_cndmask_b32_e32 v2, v1, v2, vcc_lo
	v_cmp_gt_i32_e32 vcc_lo, 32, v0
	s_delay_alu instid0(VALU_DEP_2) | instskip(SKIP_3) | instid1(VALU_DEP_4)
	v_dual_lshlrev_b32 v27, 2, v2 :: v_dual_bitop2_b32 v15, 1, v1 bitop3:0x14
	v_cndmask_b32_e32 v17, v1, v0, vcc_lo
	v_cmp_gt_i32_e32 vcc_lo, 32, v3
	v_dual_mov_b32 v0, 0 :: v_dual_cndmask_b32 v3, v1, v3
	v_cmp_gt_i32_e32 vcc_lo, 32, v15
	s_delay_alu instid0(VALU_DEP_2) | instskip(NEXT) | instid1(VALU_DEP_3)
	v_dual_lshlrev_b32 v28, 2, v17 :: v_dual_mov_b32 v2, v0
	v_lshlrev_b32_e32 v29, 2, v3
	v_dual_cndmask_b32 v1, v1, v15, vcc_lo :: v_dual_mov_b32 v3, v0
	s_delay_alu instid0(VALU_DEP_1)
	v_dual_mov_b32 v1, v0 :: v_dual_lshlrev_b32 v30, 2, v1
	s_branch .LBB18_15
.LBB18_14:                              ;   in Loop: Header=BB18_15 Depth=1
	s_wait_xcnt 0x0
	s_or_b32 exec_lo, exec_lo, s14
	ds_bpermute_b32 v13, v26, v17
	s_bcnt1_i32_b32 s14, vcc_lo
	s_wait_dscnt 0x0
	v_dual_add_nc_u32 v23, s14, v23 :: v_dual_min_i32 v13, v13, v17
	ds_bpermute_b32 v15, v27, v13
	s_wait_dscnt 0x0
	v_min_i32_e32 v13, v15, v13
	ds_bpermute_b32 v15, v28, v13
	s_wait_dscnt 0x0
	v_min_i32_e32 v13, v15, v13
	;; [unrolled: 3-line block ×4, first 2 shown]
	s_delay_alu instid0(VALU_DEP_1) | instskip(NEXT) | instid1(VALU_DEP_1)
	v_ashrrev_i32_e32 v17, 31, v16
	v_cmp_le_i64_e64 s0, s[6:7], v[16:17]
	s_or_b32 s1, s0, s1
	s_delay_alu instid0(SALU_CYCLE_1)
	s_and_not1_b32 exec_lo, exec_lo, s1
	s_cbranch_execz .LBB18_37
.LBB18_15:                              ; =>This Loop Header: Depth=1
                                        ;     Child Loop BB18_18 Depth 2
                                        ;     Child Loop BB18_28 Depth 2
	v_mov_b32_e32 v17, v18
	s_mov_b32 s14, exec_lo
	ds_store_b8 v31, v0
	ds_store_b128 v24, v[0:3]
	s_wait_storecnt_dscnt 0x0
	v_cmpx_lt_i32_e64 v12, v19
	s_cbranch_execz .LBB18_25
; %bb.16:                               ;   in Loop: Header=BB18_15 Depth=1
	v_mov_b32_e32 v17, v18
	s_mov_b32 s15, 0
	s_branch .LBB18_18
.LBB18_17:                              ;   in Loop: Header=BB18_18 Depth=2
	s_or_b32 exec_lo, exec_lo, s18
	s_delay_alu instid0(SALU_CYCLE_1) | instskip(NEXT) | instid1(SALU_CYCLE_1)
	s_and_b32 s0, exec_lo, s0
	s_or_b32 s15, s0, s15
	s_delay_alu instid0(SALU_CYCLE_1)
	s_and_not1_b32 exec_lo, exec_lo, s15
	s_cbranch_execz .LBB18_24
.LBB18_18:                              ;   Parent Loop BB18_15 Depth=1
                                        ; =>  This Inner Loop Header: Depth=2
	global_load_b32 v13, v12, s[10:11] scale_offset
	s_wait_loadcnt 0x0
	v_subrev_nc_u32_e32 v13, s12, v13
	s_delay_alu instid0(VALU_DEP_1) | instskip(NEXT) | instid1(VALU_DEP_1)
	v_sub_nc_u32_e32 v15, v13, v16
	v_cmp_lt_u32_e64 s0, 31, v15
	v_cmp_gt_u32_e32 vcc_lo, 32, v15
	s_wait_xcnt 0x0
	s_and_saveexec_b32 s18, s0
	s_delay_alu instid0(SALU_CYCLE_1)
	s_xor_b32 s0, exec_lo, s18
	s_cbranch_execnz .LBB18_21
; %bb.19:                               ;   in Loop: Header=BB18_18 Depth=2
	s_and_not1_saveexec_b32 s0, s0
	s_cbranch_execnz .LBB18_22
.LBB18_20:                              ;   in Loop: Header=BB18_18 Depth=2
	s_or_b32 exec_lo, exec_lo, s0
	s_mov_b32 s0, -1
	s_and_saveexec_b32 s18, vcc_lo
	s_cbranch_execz .LBB18_17
	s_branch .LBB18_23
.LBB18_21:                              ;   in Loop: Header=BB18_18 Depth=2
	v_min_i32_e32 v17, v13, v17
                                        ; implicit-def: $vgpr15
	s_and_not1_saveexec_b32 s0, s0
	s_cbranch_execz .LBB18_20
.LBB18_22:                              ;   in Loop: Header=BB18_18 Depth=2
	v_ashrrev_i32_e32 v13, 31, v12
	s_wait_kmcnt 0x0
	s_delay_alu instid0(VALU_DEP_1)
	v_lshl_add_u64 v[34:35], v[12:13], 4, s[16:17]
	v_add_nc_u32_e32 v13, v20, v15
	v_lshl_add_u32 v15, v15, 4, v21
	global_load_b128 v[34:37], v[34:35], off
	s_wait_loadcnt 0x0
	v_mul_f64_e64 v[38:39], v[36:37], -v[8:9]
	v_mul_f64_e32 v[40:41], v[4:5], v[36:37]
	s_delay_alu instid0(VALU_DEP_2) | instskip(NEXT) | instid1(VALU_DEP_2)
	v_fmac_f64_e32 v[38:39], v[4:5], v[34:35]
	v_fmac_f64_e32 v[40:41], v[8:9], v[34:35]
	ds_store_b8 v13, v32
	ds_store_b128 v15, v[38:41]
	s_wait_xcnt 0x0
	s_or_b32 exec_lo, exec_lo, s0
	s_mov_b32 s0, -1
	s_and_saveexec_b32 s18, vcc_lo
	s_cbranch_execz .LBB18_17
.LBB18_23:                              ;   in Loop: Header=BB18_18 Depth=2
	v_add_nc_u32_e32 v12, 32, v12
	s_delay_alu instid0(VALU_DEP_1)
	v_cmp_ge_i32_e32 vcc_lo, v12, v19
	s_or_not1_b32 s0, vcc_lo, exec_lo
	s_branch .LBB18_17
.LBB18_24:                              ;   in Loop: Header=BB18_15 Depth=1
	s_or_b32 exec_lo, exec_lo, s15
.LBB18_25:                              ;   in Loop: Header=BB18_15 Depth=1
	s_delay_alu instid0(SALU_CYCLE_1) | instskip(NEXT) | instid1(SALU_CYCLE_1)
	s_or_b32 exec_lo, exec_lo, s14
	s_mov_b32 s14, exec_lo
	s_wait_dscnt 0x0
	v_cmpx_lt_i32_e64 v14, v22
	s_cbranch_execz .LBB18_35
; %bb.26:                               ;   in Loop: Header=BB18_15 Depth=1
	s_mov_b32 s15, 0
	s_branch .LBB18_28
.LBB18_27:                              ;   in Loop: Header=BB18_28 Depth=2
	s_or_b32 exec_lo, exec_lo, s18
	s_delay_alu instid0(SALU_CYCLE_1) | instskip(NEXT) | instid1(SALU_CYCLE_1)
	s_and_b32 s0, exec_lo, s0
	s_or_b32 s15, s0, s15
	s_delay_alu instid0(SALU_CYCLE_1)
	s_and_not1_b32 exec_lo, exec_lo, s15
	s_cbranch_execz .LBB18_34
.LBB18_28:                              ;   Parent Loop BB18_15 Depth=1
                                        ; =>  This Inner Loop Header: Depth=2
	s_wait_kmcnt 0x0
	global_load_b32 v13, v14, s[2:3] scale_offset
	s_wait_loadcnt 0x0
	v_subrev_nc_u32_e32 v15, s13, v13
	s_delay_alu instid0(VALU_DEP_1) | instskip(NEXT) | instid1(VALU_DEP_1)
	v_sub_nc_u32_e32 v13, v15, v16
	v_cmp_lt_u32_e64 s0, 31, v13
	v_cmp_gt_u32_e32 vcc_lo, 32, v13
	s_wait_xcnt 0x0
	s_and_saveexec_b32 s18, s0
	s_delay_alu instid0(SALU_CYCLE_1)
	s_xor_b32 s0, exec_lo, s18
	s_cbranch_execnz .LBB18_31
; %bb.29:                               ;   in Loop: Header=BB18_28 Depth=2
	s_and_not1_saveexec_b32 s0, s0
	s_cbranch_execnz .LBB18_32
.LBB18_30:                              ;   in Loop: Header=BB18_28 Depth=2
	s_or_b32 exec_lo, exec_lo, s0
	s_mov_b32 s0, -1
	s_and_saveexec_b32 s18, vcc_lo
	s_cbranch_execz .LBB18_27
	s_branch .LBB18_33
.LBB18_31:                              ;   in Loop: Header=BB18_28 Depth=2
	v_min_i32_e32 v17, v15, v17
                                        ; implicit-def: $vgpr13
	s_and_not1_saveexec_b32 s0, s0
	s_cbranch_execz .LBB18_30
.LBB18_32:                              ;   in Loop: Header=BB18_28 Depth=2
	v_ashrrev_i32_e32 v15, 31, v14
	s_delay_alu instid0(VALU_DEP_1)
	v_lshl_add_u64 v[34:35], v[14:15], 4, s[8:9]
	v_lshl_add_u32 v15, v13, 4, v21
	v_add_nc_u32_e32 v13, v20, v13
	global_load_b128 v[34:37], v[34:35], off
	ds_load_b128 v[38:41], v15
	s_wait_loadcnt_dscnt 0x0
	v_fmac_f64_e32 v[38:39], v[10:11], v[34:35]
	v_fmac_f64_e32 v[40:41], v[6:7], v[34:35]
	s_delay_alu instid0(VALU_DEP_2) | instskip(NEXT) | instid1(VALU_DEP_2)
	v_fma_f64 v[38:39], -v[6:7], v[36:37], v[38:39]
	v_fmac_f64_e32 v[40:41], v[10:11], v[36:37]
	ds_store_b8 v13, v32
	ds_store_b128 v15, v[38:41]
	s_wait_xcnt 0x0
	s_or_b32 exec_lo, exec_lo, s0
	s_mov_b32 s0, -1
	s_and_saveexec_b32 s18, vcc_lo
	s_cbranch_execz .LBB18_27
.LBB18_33:                              ;   in Loop: Header=BB18_28 Depth=2
	v_add_nc_u32_e32 v14, 32, v14
	s_delay_alu instid0(VALU_DEP_1)
	v_cmp_ge_i32_e32 vcc_lo, v14, v22
	s_or_not1_b32 s0, vcc_lo, exec_lo
	s_branch .LBB18_27
.LBB18_34:                              ;   in Loop: Header=BB18_15 Depth=1
	s_or_b32 exec_lo, exec_lo, s15
.LBB18_35:                              ;   in Loop: Header=BB18_15 Depth=1
	s_delay_alu instid0(SALU_CYCLE_1)
	s_or_b32 exec_lo, exec_lo, s14
	s_wait_dscnt 0x0
	ds_load_u8 v13, v31
	s_mov_b32 s14, exec_lo
	s_wait_dscnt 0x0
	v_and_b32_e32 v15, 1, v13
	v_cmp_ne_u16_e32 vcc_lo, 0, v13
	s_delay_alu instid0(VALU_DEP_2)
	v_cmpx_eq_u32_e32 1, v15
	s_cbranch_execz .LBB18_14
; %bb.36:                               ;   in Loop: Header=BB18_15 Depth=1
	ds_load_2addr_b64 v[34:37], v24 offset1:1
	v_and_b32_e32 v13, vcc_lo, v25
	s_delay_alu instid0(VALU_DEP_1) | instskip(NEXT) | instid1(VALU_DEP_1)
	v_bcnt_u32_b32 v13, v13, 0
	v_add3_u32 v13, v23, v13, -1
	s_wait_dscnt 0x0
	s_wait_kmcnt 0x0
	global_store_b128 v13, v[34:37], s[4:5] scale_offset
	s_branch .LBB18_14
.LBB18_37:
	s_endpgm
	.section	.rodata,"a",@progbits
	.p2align	6, 0x0
	.amdhsa_kernel _ZN9rocsparseL37csrgeam_fill_numeric_multipass_kernelILj256ELj32Eii21rocsparse_complex_numIdEEEvllNS_24const_host_device_scalarIT3_EEPKT1_PKT2_PKS4_S5_S8_SB_SD_S8_PS4_21rocsparse_index_base_SF_SF_bbb
		.amdhsa_group_segment_fixed_size 4352
		.amdhsa_private_segment_fixed_size 24
		.amdhsa_kernarg_size 128
		.amdhsa_user_sgpr_count 2
		.amdhsa_user_sgpr_dispatch_ptr 0
		.amdhsa_user_sgpr_queue_ptr 0
		.amdhsa_user_sgpr_kernarg_segment_ptr 1
		.amdhsa_user_sgpr_dispatch_id 0
		.amdhsa_user_sgpr_kernarg_preload_length 0
		.amdhsa_user_sgpr_kernarg_preload_offset 0
		.amdhsa_user_sgpr_private_segment_size 0
		.amdhsa_wavefront_size32 1
		.amdhsa_uses_dynamic_stack 0
		.amdhsa_enable_private_segment 1
		.amdhsa_system_sgpr_workgroup_id_x 1
		.amdhsa_system_sgpr_workgroup_id_y 0
		.amdhsa_system_sgpr_workgroup_id_z 0
		.amdhsa_system_sgpr_workgroup_info 0
		.amdhsa_system_vgpr_workitem_id 0
		.amdhsa_next_free_vgpr 42
		.amdhsa_next_free_sgpr 21
		.amdhsa_named_barrier_count 0
		.amdhsa_reserve_vcc 1
		.amdhsa_float_round_mode_32 0
		.amdhsa_float_round_mode_16_64 0
		.amdhsa_float_denorm_mode_32 3
		.amdhsa_float_denorm_mode_16_64 3
		.amdhsa_fp16_overflow 0
		.amdhsa_memory_ordered 1
		.amdhsa_forward_progress 1
		.amdhsa_inst_pref_size 14
		.amdhsa_round_robin_scheduling 0
		.amdhsa_exception_fp_ieee_invalid_op 0
		.amdhsa_exception_fp_denorm_src 0
		.amdhsa_exception_fp_ieee_div_zero 0
		.amdhsa_exception_fp_ieee_overflow 0
		.amdhsa_exception_fp_ieee_underflow 0
		.amdhsa_exception_fp_ieee_inexact 0
		.amdhsa_exception_int_div_zero 0
	.end_amdhsa_kernel
	.section	.text._ZN9rocsparseL37csrgeam_fill_numeric_multipass_kernelILj256ELj32Eii21rocsparse_complex_numIdEEEvllNS_24const_host_device_scalarIT3_EEPKT1_PKT2_PKS4_S5_S8_SB_SD_S8_PS4_21rocsparse_index_base_SF_SF_bbb,"axG",@progbits,_ZN9rocsparseL37csrgeam_fill_numeric_multipass_kernelILj256ELj32Eii21rocsparse_complex_numIdEEEvllNS_24const_host_device_scalarIT3_EEPKT1_PKT2_PKS4_S5_S8_SB_SD_S8_PS4_21rocsparse_index_base_SF_SF_bbb,comdat
.Lfunc_end18:
	.size	_ZN9rocsparseL37csrgeam_fill_numeric_multipass_kernelILj256ELj32Eii21rocsparse_complex_numIdEEEvllNS_24const_host_device_scalarIT3_EEPKT1_PKT2_PKS4_S5_S8_SB_SD_S8_PS4_21rocsparse_index_base_SF_SF_bbb, .Lfunc_end18-_ZN9rocsparseL37csrgeam_fill_numeric_multipass_kernelILj256ELj32Eii21rocsparse_complex_numIdEEEvllNS_24const_host_device_scalarIT3_EEPKT1_PKT2_PKS4_S5_S8_SB_SD_S8_PS4_21rocsparse_index_base_SF_SF_bbb
                                        ; -- End function
	.set _ZN9rocsparseL37csrgeam_fill_numeric_multipass_kernelILj256ELj32Eii21rocsparse_complex_numIdEEEvllNS_24const_host_device_scalarIT3_EEPKT1_PKT2_PKS4_S5_S8_SB_SD_S8_PS4_21rocsparse_index_base_SF_SF_bbb.num_vgpr, 42
	.set _ZN9rocsparseL37csrgeam_fill_numeric_multipass_kernelILj256ELj32Eii21rocsparse_complex_numIdEEEvllNS_24const_host_device_scalarIT3_EEPKT1_PKT2_PKS4_S5_S8_SB_SD_S8_PS4_21rocsparse_index_base_SF_SF_bbb.num_agpr, 0
	.set _ZN9rocsparseL37csrgeam_fill_numeric_multipass_kernelILj256ELj32Eii21rocsparse_complex_numIdEEEvllNS_24const_host_device_scalarIT3_EEPKT1_PKT2_PKS4_S5_S8_SB_SD_S8_PS4_21rocsparse_index_base_SF_SF_bbb.numbered_sgpr, 21
	.set _ZN9rocsparseL37csrgeam_fill_numeric_multipass_kernelILj256ELj32Eii21rocsparse_complex_numIdEEEvllNS_24const_host_device_scalarIT3_EEPKT1_PKT2_PKS4_S5_S8_SB_SD_S8_PS4_21rocsparse_index_base_SF_SF_bbb.num_named_barrier, 0
	.set _ZN9rocsparseL37csrgeam_fill_numeric_multipass_kernelILj256ELj32Eii21rocsparse_complex_numIdEEEvllNS_24const_host_device_scalarIT3_EEPKT1_PKT2_PKS4_S5_S8_SB_SD_S8_PS4_21rocsparse_index_base_SF_SF_bbb.private_seg_size, 24
	.set _ZN9rocsparseL37csrgeam_fill_numeric_multipass_kernelILj256ELj32Eii21rocsparse_complex_numIdEEEvllNS_24const_host_device_scalarIT3_EEPKT1_PKT2_PKS4_S5_S8_SB_SD_S8_PS4_21rocsparse_index_base_SF_SF_bbb.uses_vcc, 1
	.set _ZN9rocsparseL37csrgeam_fill_numeric_multipass_kernelILj256ELj32Eii21rocsparse_complex_numIdEEEvllNS_24const_host_device_scalarIT3_EEPKT1_PKT2_PKS4_S5_S8_SB_SD_S8_PS4_21rocsparse_index_base_SF_SF_bbb.uses_flat_scratch, 1
	.set _ZN9rocsparseL37csrgeam_fill_numeric_multipass_kernelILj256ELj32Eii21rocsparse_complex_numIdEEEvllNS_24const_host_device_scalarIT3_EEPKT1_PKT2_PKS4_S5_S8_SB_SD_S8_PS4_21rocsparse_index_base_SF_SF_bbb.has_dyn_sized_stack, 0
	.set _ZN9rocsparseL37csrgeam_fill_numeric_multipass_kernelILj256ELj32Eii21rocsparse_complex_numIdEEEvllNS_24const_host_device_scalarIT3_EEPKT1_PKT2_PKS4_S5_S8_SB_SD_S8_PS4_21rocsparse_index_base_SF_SF_bbb.has_recursion, 0
	.set _ZN9rocsparseL37csrgeam_fill_numeric_multipass_kernelILj256ELj32Eii21rocsparse_complex_numIdEEEvllNS_24const_host_device_scalarIT3_EEPKT1_PKT2_PKS4_S5_S8_SB_SD_S8_PS4_21rocsparse_index_base_SF_SF_bbb.has_indirect_call, 0
	.section	.AMDGPU.csdata,"",@progbits
; Kernel info:
; codeLenInByte = 1772
; TotalNumSgprs: 23
; NumVgprs: 42
; ScratchSize: 24
; MemoryBound: 0
; FloatMode: 240
; IeeeMode: 1
; LDSByteSize: 4352 bytes/workgroup (compile time only)
; SGPRBlocks: 0
; VGPRBlocks: 2
; NumSGPRsForWavesPerEU: 23
; NumVGPRsForWavesPerEU: 42
; NamedBarCnt: 0
; Occupancy: 16
; WaveLimiterHint : 1
; COMPUTE_PGM_RSRC2:SCRATCH_EN: 1
; COMPUTE_PGM_RSRC2:USER_SGPR: 2
; COMPUTE_PGM_RSRC2:TRAP_HANDLER: 0
; COMPUTE_PGM_RSRC2:TGID_X_EN: 1
; COMPUTE_PGM_RSRC2:TGID_Y_EN: 0
; COMPUTE_PGM_RSRC2:TGID_Z_EN: 0
; COMPUTE_PGM_RSRC2:TIDIG_COMP_CNT: 0
	.section	.text._ZN9rocsparseL37csrgeam_fill_numeric_multipass_kernelILj256ELj64Eii21rocsparse_complex_numIdEEEvllNS_24const_host_device_scalarIT3_EEPKT1_PKT2_PKS4_S5_S8_SB_SD_S8_PS4_21rocsparse_index_base_SF_SF_bbb,"axG",@progbits,_ZN9rocsparseL37csrgeam_fill_numeric_multipass_kernelILj256ELj64Eii21rocsparse_complex_numIdEEEvllNS_24const_host_device_scalarIT3_EEPKT1_PKT2_PKS4_S5_S8_SB_SD_S8_PS4_21rocsparse_index_base_SF_SF_bbb,comdat
	.globl	_ZN9rocsparseL37csrgeam_fill_numeric_multipass_kernelILj256ELj64Eii21rocsparse_complex_numIdEEEvllNS_24const_host_device_scalarIT3_EEPKT1_PKT2_PKS4_S5_S8_SB_SD_S8_PS4_21rocsparse_index_base_SF_SF_bbb ; -- Begin function _ZN9rocsparseL37csrgeam_fill_numeric_multipass_kernelILj256ELj64Eii21rocsparse_complex_numIdEEEvllNS_24const_host_device_scalarIT3_EEPKT1_PKT2_PKS4_S5_S8_SB_SD_S8_PS4_21rocsparse_index_base_SF_SF_bbb
	.p2align	8
	.type	_ZN9rocsparseL37csrgeam_fill_numeric_multipass_kernelILj256ELj64Eii21rocsparse_complex_numIdEEEvllNS_24const_host_device_scalarIT3_EEPKT1_PKT2_PKS4_S5_S8_SB_SD_S8_PS4_21rocsparse_index_base_SF_SF_bbb,@function
_ZN9rocsparseL37csrgeam_fill_numeric_multipass_kernelILj256ELj64Eii21rocsparse_complex_numIdEEEvllNS_24const_host_device_scalarIT3_EEPKT1_PKT2_PKS4_S5_S8_SB_SD_S8_PS4_21rocsparse_index_base_SF_SF_bbb: ; @_ZN9rocsparseL37csrgeam_fill_numeric_multipass_kernelILj256ELj64Eii21rocsparse_complex_numIdEEEvllNS_24const_host_device_scalarIT3_EEPKT1_PKT2_PKS4_S5_S8_SB_SD_S8_PS4_21rocsparse_index_base_SF_SF_bbb
; %bb.0:
	s_clause 0x3
	s_load_b32 s20, s[0:1], 0x7c
	s_load_b256 s[4:11], s[0:1], 0x0
	s_load_b128 s[16:19], s[0:1], 0x38
	s_load_b128 s[12:15], s[0:1], 0x70
	v_mov_b64_e32 v[6:7], 0
	v_mov_b64_e32 v[4:5], 0
	;; [unrolled: 1-line block ×3, first 2 shown]
	v_mbcnt_lo_u32_b32 v1, -1, 0
	s_wait_kmcnt 0x0
	s_bitcmp1_b32 s20, 16
	v_mov_b64_e32 v[2:3], s[8:9]
	s_cselect_b32 s2, -1, 0
	v_mov_b64_e32 v[10:11], s[16:17]
	s_xor_b32 s3, s2, -1
	s_bitcmp0_b32 s15, 0
	v_cndmask_b32_e64 v12, 0, 1, s3
	s_clause 0x1
	scratch_store_b64 off, v[2:3], off
	scratch_store_b64 off, v[10:11], off offset:8
	v_cmp_ne_u32_e32 vcc_lo, 1, v12
	s_cbranch_scc1 .LBB19_3
; %bb.1:
	s_wait_xcnt 0x1
	v_dual_mov_b32 v2, 0 :: v_dual_lshlrev_b32 v3, 20, v1
	v_mov_b64_e32 v[8:9], s[10:11]
	s_and_b32 vcc_lo, exec_lo, vcc_lo
	s_delay_alu instid0(VALU_DEP_2) | instskip(NEXT) | instid1(VALU_DEP_1)
	v_add_nc_u64_e32 v[2:3], src_flat_scratch_base_lo, v[2:3]
	v_cndmask_b32_e64 v3, s9, v3, s2
	s_delay_alu instid0(VALU_DEP_2)
	v_cndmask_b32_e64 v2, s8, v2, s2
	flat_load_b64 v[4:5], v[2:3]
	s_cbranch_vccnz .LBB19_3
; %bb.2:
	s_wait_xcnt 0x0
	v_mov_b32_e32 v2, 0
	flat_load_b64 v[8:9], v2, s[8:9] offset:8
.LBB19_3:
	s_wait_xcnt 0x0
	v_mov_b64_e32 v[10:11], 0
	s_bfe_u32 s8, s20, 0x10008
	s_delay_alu instid0(SALU_CYCLE_1)
	s_cmp_eq_u32 s8, 0
	s_cbranch_scc1 .LBB19_6
; %bb.4:
	v_dual_mov_b32 v2, 8 :: v_dual_lshlrev_b32 v3, 20, v1
	v_mov_b64_e32 v[6:7], s[18:19]
	s_and_not1_b32 vcc_lo, exec_lo, s3
	s_delay_alu instid0(VALU_DEP_2) | instskip(NEXT) | instid1(VALU_DEP_1)
	v_add_nc_u64_e32 v[2:3], src_flat_scratch_base_lo, v[2:3]
	v_cndmask_b32_e64 v3, s17, v3, s2
	s_delay_alu instid0(VALU_DEP_2)
	v_cndmask_b32_e64 v2, s16, v2, s2
	flat_load_b64 v[10:11], v[2:3]
	s_cbranch_vccnz .LBB19_6
; %bb.5:
	s_wait_xcnt 0x0
	v_mov_b32_e32 v2, 0
	flat_load_b64 v[6:7], v2, s[16:17] offset:8
.LBB19_6:
	s_bfe_u32 s2, ttmp6, 0x4000c
	s_and_b32 s3, ttmp6, 15
	s_add_co_i32 s2, s2, 1
	s_getreg_b32 s8, hwreg(HW_REG_IB_STS2, 6, 4)
	s_mul_i32 s2, ttmp9, s2
	s_wait_xcnt 0x0
	v_dual_mov_b32 v15, 0 :: v_dual_lshrrev_b32 v2, 6, v0
	s_add_co_i32 s3, s3, s2
	s_cmp_eq_u32 s8, 0
	s_cselect_b32 s2, ttmp9, s3
	s_delay_alu instid0(SALU_CYCLE_1) | instskip(NEXT) | instid1(SALU_CYCLE_1)
	s_lshl_b32 s2, s2, 2
	v_and_or_b32 v14, 0x3fffffc, s2, v2
	s_mov_b32 s2, exec_lo
	s_delay_alu instid0(VALU_DEP_1)
	v_cmpx_gt_i64_e64 s[4:5], v[14:15]
	s_cbranch_execz .LBB19_37
; %bb.7:
	s_clause 0x2
	s_load_b128 s[8:11], s[0:1], 0x20
	s_load_b64 s[2:3], s[0:1], 0x48
	s_load_b64 s[4:5], s[0:1], 0x60
	v_lshlrev_b32_e32 v16, 2, v14
	s_wait_kmcnt 0x0
	s_clause 0x1
	global_load_b64 v[12:13], v16, s[8:9]
	global_load_b64 v[2:3], v16, s[2:3]
	global_load_b32 v15, v14, s[4:5] scale_offset
	s_wait_xcnt 0x1
	s_mov_b32 s2, exec_lo
	s_wait_loadcnt 0x2
	s_wait_xcnt 0x0
	v_cmpx_ge_i32_e64 v12, v13
	s_xor_b32 s2, exec_lo, s2
	s_delay_alu instid0(SALU_CYCLE_1)
	s_or_saveexec_b32 s2, s2
	v_subrev_nc_u32_e32 v12, s12, v12
	v_mov_b32_e32 v14, s6
	s_xor_b32 exec_lo, exec_lo, s2
	s_cbranch_execz .LBB19_9
; %bb.8:
	global_load_b32 v14, v12, s[10:11] scale_offset
	s_wait_loadcnt 0x0
	v_subrev_nc_u32_e32 v14, s12, v14
.LBB19_9:
	s_wait_xcnt 0x0
	s_or_b32 exec_lo, exec_lo, s2
	s_load_b64 s[2:3], s[0:1], 0x50
	v_mov_b32_e32 v20, s6
	s_mov_b32 s4, exec_lo
	s_wait_loadcnt 0x1
	v_cmpx_ge_i32_e64 v2, v3
	s_xor_b32 s4, exec_lo, s4
; %bb.10:
	v_mov_b32_e32 v20, s6
; %bb.11:
	s_or_saveexec_b32 s8, s4
	s_load_b64 s[4:5], s[0:1], 0x68
	v_subrev_nc_u32_e32 v2, s13, v2
	s_delay_alu instid0(VALU_DEP_2)
	v_mov_b32_e32 v16, v20
	s_xor_b32 exec_lo, exec_lo, s8
	s_cbranch_execz .LBB19_13
; %bb.12:
	s_wait_kmcnt 0x0
	global_load_b32 v16, v2, s[2:3] scale_offset
	s_wait_loadcnt 0x0
	v_subrev_nc_u32_e32 v16, s13, v16
.LBB19_13:
	s_wait_xcnt 0x0
	s_or_b32 exec_lo, exec_lo, s8
	v_and_b32_e32 v17, 0xc0, v0
	v_subrev_nc_u32_e32 v24, s13, v3
	v_or_b32_e32 v3, 32, v1
	v_subrev_nc_u32_e32 v21, s12, v13
	s_wait_loadcnt 0x0
	v_subrev_nc_u32_e32 v25, s14, v15
	v_dual_lshlrev_b32 v23, 4, v17 :: v_dual_bitop2_b32 v13, 63, v0 bitop3:0x40
	v_xor_b32_e32 v15, 16, v1
	v_cmp_gt_i32_e32 vcc_lo, 32, v3
	v_min_i32_e32 v18, v16, v14
	v_bitop3_b32 v0, v0, 63, v0 bitop3:0xc
	v_dual_add_nc_u32 v12, v12, v13 :: v_dual_add_nc_u32 v14, v2, v13
	v_cndmask_b32_e32 v2, v1, v3, vcc_lo
	v_cmp_gt_i32_e32 vcc_lo, 32, v15
	v_or_b32_e32 v22, 0x1000, v17
	v_lshrrev_b64 v[16:17], v0, -1
	s_delay_alu instid0(VALU_DEP_4)
	v_dual_lshlrev_b32 v17, 2, v2 :: v_dual_bitop2_b32 v0, 8, v1 bitop3:0x14
	v_cndmask_b32_e32 v3, v1, v15, vcc_lo
	s_clause 0x1
	s_load_b64 s[8:9], s[0:1], 0x58
	s_load_b64 s[16:17], s[0:1], 0x30
	v_lshl_or_b32 v26, v13, 4, v23
	v_cmp_gt_i32_e32 vcc_lo, 32, v0
	v_dual_lshlrev_b32 v27, 2, v3 :: v_dual_bitop2_b32 v2, 4, v1 bitop3:0x14
	v_mov_b32_e32 v33, 1
	s_wait_xcnt 0x0
	s_mov_b32 s1, 0
	v_cndmask_b32_e32 v0, v1, v0, vcc_lo
	v_cmp_gt_i32_e32 vcc_lo, 32, v2
	s_delay_alu instid0(VALU_DEP_2) | instskip(SKIP_1) | instid1(VALU_DEP_2)
	v_dual_lshlrev_b32 v28, 2, v0 :: v_dual_bitop2_b32 v3, 2, v1 bitop3:0x14
	v_cndmask_b32_e32 v2, v1, v2, vcc_lo
	v_cmp_gt_i32_e32 vcc_lo, 32, v3
	v_dual_mov_b32 v0, 0 :: v_dual_bitop2_b32 v15, 1, v1 bitop3:0x14
	s_delay_alu instid0(VALU_DEP_3) | instskip(NEXT) | instid1(VALU_DEP_2)
	v_dual_lshlrev_b32 v29, 2, v2 :: v_dual_cndmask_b32 v3, v1, v3, vcc_lo
	v_cmp_gt_i32_e32 vcc_lo, 32, v15
	s_delay_alu instid0(VALU_DEP_3) | instskip(SKIP_1) | instid1(VALU_DEP_4)
	v_dual_add_nc_u32 v32, v22, v13 :: v_dual_mov_b32 v2, v0
	v_cndmask_b32_e32 v1, v1, v15, vcc_lo
	v_dual_mov_b32 v3, v0 :: v_dual_lshlrev_b32 v30, 2, v3
	s_delay_alu instid0(VALU_DEP_2)
	v_dual_lshlrev_b32 v31, 2, v1 :: v_dual_mov_b32 v1, v0
	s_branch .LBB19_15
.LBB19_14:                              ;   in Loop: Header=BB19_15 Depth=1
	s_wait_xcnt 0x0
	s_or_b32 exec_lo, exec_lo, s14
	ds_bpermute_b32 v13, v17, v19
	s_bcnt1_i32_b32 s14, vcc_lo
	s_wait_dscnt 0x0
	v_dual_add_nc_u32 v25, s14, v25 :: v_dual_min_i32 v13, v13, v19
	ds_bpermute_b32 v15, v27, v13
	s_wait_dscnt 0x0
	v_min_i32_e32 v13, v15, v13
	ds_bpermute_b32 v15, v28, v13
	s_wait_dscnt 0x0
	v_min_i32_e32 v13, v15, v13
	;; [unrolled: 3-line block ×5, first 2 shown]
	s_delay_alu instid0(VALU_DEP_1) | instskip(NEXT) | instid1(VALU_DEP_1)
	v_ashrrev_i32_e32 v19, 31, v18
	v_cmp_le_i64_e64 s0, s[6:7], v[18:19]
	s_or_b32 s1, s0, s1
	s_delay_alu instid0(SALU_CYCLE_1)
	s_and_not1_b32 exec_lo, exec_lo, s1
	s_cbranch_execz .LBB19_37
.LBB19_15:                              ; =>This Loop Header: Depth=1
                                        ;     Child Loop BB19_18 Depth 2
                                        ;     Child Loop BB19_28 Depth 2
	v_mov_b32_e32 v19, v20
	s_mov_b32 s14, exec_lo
	ds_store_b8 v32, v0
	ds_store_b128 v26, v[0:3]
	s_wait_storecnt_dscnt 0x0
	v_cmpx_lt_i32_e64 v12, v21
	s_cbranch_execz .LBB19_25
; %bb.16:                               ;   in Loop: Header=BB19_15 Depth=1
	v_mov_b32_e32 v19, v20
	s_mov_b32 s15, 0
	s_branch .LBB19_18
.LBB19_17:                              ;   in Loop: Header=BB19_18 Depth=2
	s_or_b32 exec_lo, exec_lo, s18
	s_delay_alu instid0(SALU_CYCLE_1) | instskip(NEXT) | instid1(SALU_CYCLE_1)
	s_and_b32 s0, exec_lo, s0
	s_or_b32 s15, s0, s15
	s_delay_alu instid0(SALU_CYCLE_1)
	s_and_not1_b32 exec_lo, exec_lo, s15
	s_cbranch_execz .LBB19_24
.LBB19_18:                              ;   Parent Loop BB19_15 Depth=1
                                        ; =>  This Inner Loop Header: Depth=2
	global_load_b32 v13, v12, s[10:11] scale_offset
	s_wait_loadcnt 0x0
	v_subrev_nc_u32_e32 v13, s12, v13
	s_delay_alu instid0(VALU_DEP_1) | instskip(NEXT) | instid1(VALU_DEP_1)
	v_sub_nc_u32_e32 v15, v13, v18
	v_cmp_lt_u32_e64 s0, 63, v15
	v_cmp_gt_u32_e32 vcc_lo, 64, v15
	s_wait_xcnt 0x0
	s_and_saveexec_b32 s18, s0
	s_delay_alu instid0(SALU_CYCLE_1)
	s_xor_b32 s0, exec_lo, s18
	s_cbranch_execnz .LBB19_21
; %bb.19:                               ;   in Loop: Header=BB19_18 Depth=2
	s_and_not1_saveexec_b32 s0, s0
	s_cbranch_execnz .LBB19_22
.LBB19_20:                              ;   in Loop: Header=BB19_18 Depth=2
	s_or_b32 exec_lo, exec_lo, s0
	s_mov_b32 s0, -1
	s_and_saveexec_b32 s18, vcc_lo
	s_cbranch_execz .LBB19_17
	s_branch .LBB19_23
.LBB19_21:                              ;   in Loop: Header=BB19_18 Depth=2
	v_min_i32_e32 v19, v13, v19
                                        ; implicit-def: $vgpr15
	s_and_not1_saveexec_b32 s0, s0
	s_cbranch_execz .LBB19_20
.LBB19_22:                              ;   in Loop: Header=BB19_18 Depth=2
	v_ashrrev_i32_e32 v13, 31, v12
	s_wait_kmcnt 0x0
	s_delay_alu instid0(VALU_DEP_1)
	v_lshl_add_u64 v[34:35], v[12:13], 4, s[16:17]
	v_add_nc_u32_e32 v13, v22, v15
	v_lshl_add_u32 v15, v15, 4, v23
	global_load_b128 v[34:37], v[34:35], off
	s_wait_loadcnt 0x0
	v_mul_f64_e64 v[38:39], v[36:37], -v[8:9]
	v_mul_f64_e32 v[40:41], v[4:5], v[36:37]
	s_delay_alu instid0(VALU_DEP_2) | instskip(NEXT) | instid1(VALU_DEP_2)
	v_fmac_f64_e32 v[38:39], v[4:5], v[34:35]
	v_fmac_f64_e32 v[40:41], v[8:9], v[34:35]
	ds_store_b8 v13, v33
	ds_store_b128 v15, v[38:41]
	s_wait_xcnt 0x0
	s_or_b32 exec_lo, exec_lo, s0
	s_mov_b32 s0, -1
	s_and_saveexec_b32 s18, vcc_lo
	s_cbranch_execz .LBB19_17
.LBB19_23:                              ;   in Loop: Header=BB19_18 Depth=2
	v_add_nc_u32_e32 v12, 64, v12
	s_delay_alu instid0(VALU_DEP_1)
	v_cmp_ge_i32_e32 vcc_lo, v12, v21
	s_or_not1_b32 s0, vcc_lo, exec_lo
	s_branch .LBB19_17
.LBB19_24:                              ;   in Loop: Header=BB19_15 Depth=1
	s_or_b32 exec_lo, exec_lo, s15
.LBB19_25:                              ;   in Loop: Header=BB19_15 Depth=1
	s_delay_alu instid0(SALU_CYCLE_1) | instskip(NEXT) | instid1(SALU_CYCLE_1)
	s_or_b32 exec_lo, exec_lo, s14
	s_mov_b32 s14, exec_lo
	s_wait_dscnt 0x0
	v_cmpx_lt_i32_e64 v14, v24
	s_cbranch_execz .LBB19_35
; %bb.26:                               ;   in Loop: Header=BB19_15 Depth=1
	s_mov_b32 s15, 0
	s_branch .LBB19_28
.LBB19_27:                              ;   in Loop: Header=BB19_28 Depth=2
	s_or_b32 exec_lo, exec_lo, s18
	s_delay_alu instid0(SALU_CYCLE_1) | instskip(NEXT) | instid1(SALU_CYCLE_1)
	s_and_b32 s0, exec_lo, s0
	s_or_b32 s15, s0, s15
	s_delay_alu instid0(SALU_CYCLE_1)
	s_and_not1_b32 exec_lo, exec_lo, s15
	s_cbranch_execz .LBB19_34
.LBB19_28:                              ;   Parent Loop BB19_15 Depth=1
                                        ; =>  This Inner Loop Header: Depth=2
	s_wait_kmcnt 0x0
	global_load_b32 v13, v14, s[2:3] scale_offset
	s_wait_loadcnt 0x0
	v_subrev_nc_u32_e32 v15, s13, v13
	s_delay_alu instid0(VALU_DEP_1) | instskip(NEXT) | instid1(VALU_DEP_1)
	v_sub_nc_u32_e32 v13, v15, v18
	v_cmp_lt_u32_e64 s0, 63, v13
	v_cmp_gt_u32_e32 vcc_lo, 64, v13
	s_wait_xcnt 0x0
	s_and_saveexec_b32 s18, s0
	s_delay_alu instid0(SALU_CYCLE_1)
	s_xor_b32 s0, exec_lo, s18
	s_cbranch_execnz .LBB19_31
; %bb.29:                               ;   in Loop: Header=BB19_28 Depth=2
	s_and_not1_saveexec_b32 s0, s0
	s_cbranch_execnz .LBB19_32
.LBB19_30:                              ;   in Loop: Header=BB19_28 Depth=2
	s_or_b32 exec_lo, exec_lo, s0
	s_mov_b32 s0, -1
	s_and_saveexec_b32 s18, vcc_lo
	s_cbranch_execz .LBB19_27
	s_branch .LBB19_33
.LBB19_31:                              ;   in Loop: Header=BB19_28 Depth=2
	v_min_i32_e32 v19, v15, v19
                                        ; implicit-def: $vgpr13
	s_and_not1_saveexec_b32 s0, s0
	s_cbranch_execz .LBB19_30
.LBB19_32:                              ;   in Loop: Header=BB19_28 Depth=2
	v_ashrrev_i32_e32 v15, 31, v14
	s_delay_alu instid0(VALU_DEP_1)
	v_lshl_add_u64 v[34:35], v[14:15], 4, s[8:9]
	v_lshl_add_u32 v15, v13, 4, v23
	v_add_nc_u32_e32 v13, v22, v13
	global_load_b128 v[34:37], v[34:35], off
	ds_load_b128 v[38:41], v15
	s_wait_loadcnt_dscnt 0x0
	v_fmac_f64_e32 v[38:39], v[10:11], v[34:35]
	v_fmac_f64_e32 v[40:41], v[6:7], v[34:35]
	s_delay_alu instid0(VALU_DEP_2) | instskip(NEXT) | instid1(VALU_DEP_2)
	v_fma_f64 v[38:39], -v[6:7], v[36:37], v[38:39]
	v_fmac_f64_e32 v[40:41], v[10:11], v[36:37]
	ds_store_b8 v13, v33
	ds_store_b128 v15, v[38:41]
	s_wait_xcnt 0x0
	s_or_b32 exec_lo, exec_lo, s0
	s_mov_b32 s0, -1
	s_and_saveexec_b32 s18, vcc_lo
	s_cbranch_execz .LBB19_27
.LBB19_33:                              ;   in Loop: Header=BB19_28 Depth=2
	v_add_nc_u32_e32 v14, 64, v14
	s_delay_alu instid0(VALU_DEP_1)
	v_cmp_ge_i32_e32 vcc_lo, v14, v24
	s_or_not1_b32 s0, vcc_lo, exec_lo
	s_branch .LBB19_27
.LBB19_34:                              ;   in Loop: Header=BB19_15 Depth=1
	s_or_b32 exec_lo, exec_lo, s15
.LBB19_35:                              ;   in Loop: Header=BB19_15 Depth=1
	s_delay_alu instid0(SALU_CYCLE_1)
	s_or_b32 exec_lo, exec_lo, s14
	s_wait_dscnt 0x0
	ds_load_u8 v13, v32
	s_mov_b32 s14, exec_lo
	s_wait_dscnt 0x0
	v_and_b32_e32 v15, 1, v13
	v_cmp_ne_u16_e32 vcc_lo, 0, v13
	s_delay_alu instid0(VALU_DEP_2)
	v_cmpx_eq_u32_e32 1, v15
	s_cbranch_execz .LBB19_14
; %bb.36:                               ;   in Loop: Header=BB19_15 Depth=1
	ds_load_2addr_b64 v[34:37], v26 offset1:1
	v_and_b32_e32 v13, vcc_lo, v16
	s_delay_alu instid0(VALU_DEP_1) | instskip(NEXT) | instid1(VALU_DEP_1)
	v_bcnt_u32_b32 v13, v13, 0
	v_add3_u32 v13, v25, v13, -1
	s_wait_dscnt 0x0
	s_wait_kmcnt 0x0
	global_store_b128 v13, v[34:37], s[4:5] scale_offset
	s_branch .LBB19_14
.LBB19_37:
	s_endpgm
	.section	.rodata,"a",@progbits
	.p2align	6, 0x0
	.amdhsa_kernel _ZN9rocsparseL37csrgeam_fill_numeric_multipass_kernelILj256ELj64Eii21rocsparse_complex_numIdEEEvllNS_24const_host_device_scalarIT3_EEPKT1_PKT2_PKS4_S5_S8_SB_SD_S8_PS4_21rocsparse_index_base_SF_SF_bbb
		.amdhsa_group_segment_fixed_size 4352
		.amdhsa_private_segment_fixed_size 24
		.amdhsa_kernarg_size 128
		.amdhsa_user_sgpr_count 2
		.amdhsa_user_sgpr_dispatch_ptr 0
		.amdhsa_user_sgpr_queue_ptr 0
		.amdhsa_user_sgpr_kernarg_segment_ptr 1
		.amdhsa_user_sgpr_dispatch_id 0
		.amdhsa_user_sgpr_kernarg_preload_length 0
		.amdhsa_user_sgpr_kernarg_preload_offset 0
		.amdhsa_user_sgpr_private_segment_size 0
		.amdhsa_wavefront_size32 1
		.amdhsa_uses_dynamic_stack 0
		.amdhsa_enable_private_segment 1
		.amdhsa_system_sgpr_workgroup_id_x 1
		.amdhsa_system_sgpr_workgroup_id_y 0
		.amdhsa_system_sgpr_workgroup_id_z 0
		.amdhsa_system_sgpr_workgroup_info 0
		.amdhsa_system_vgpr_workitem_id 0
		.amdhsa_next_free_vgpr 42
		.amdhsa_next_free_sgpr 21
		.amdhsa_named_barrier_count 0
		.amdhsa_reserve_vcc 1
		.amdhsa_float_round_mode_32 0
		.amdhsa_float_round_mode_16_64 0
		.amdhsa_float_denorm_mode_32 3
		.amdhsa_float_denorm_mode_16_64 3
		.amdhsa_fp16_overflow 0
		.amdhsa_memory_ordered 1
		.amdhsa_forward_progress 1
		.amdhsa_inst_pref_size 15
		.amdhsa_round_robin_scheduling 0
		.amdhsa_exception_fp_ieee_invalid_op 0
		.amdhsa_exception_fp_denorm_src 0
		.amdhsa_exception_fp_ieee_div_zero 0
		.amdhsa_exception_fp_ieee_overflow 0
		.amdhsa_exception_fp_ieee_underflow 0
		.amdhsa_exception_fp_ieee_inexact 0
		.amdhsa_exception_int_div_zero 0
	.end_amdhsa_kernel
	.section	.text._ZN9rocsparseL37csrgeam_fill_numeric_multipass_kernelILj256ELj64Eii21rocsparse_complex_numIdEEEvllNS_24const_host_device_scalarIT3_EEPKT1_PKT2_PKS4_S5_S8_SB_SD_S8_PS4_21rocsparse_index_base_SF_SF_bbb,"axG",@progbits,_ZN9rocsparseL37csrgeam_fill_numeric_multipass_kernelILj256ELj64Eii21rocsparse_complex_numIdEEEvllNS_24const_host_device_scalarIT3_EEPKT1_PKT2_PKS4_S5_S8_SB_SD_S8_PS4_21rocsparse_index_base_SF_SF_bbb,comdat
.Lfunc_end19:
	.size	_ZN9rocsparseL37csrgeam_fill_numeric_multipass_kernelILj256ELj64Eii21rocsparse_complex_numIdEEEvllNS_24const_host_device_scalarIT3_EEPKT1_PKT2_PKS4_S5_S8_SB_SD_S8_PS4_21rocsparse_index_base_SF_SF_bbb, .Lfunc_end19-_ZN9rocsparseL37csrgeam_fill_numeric_multipass_kernelILj256ELj64Eii21rocsparse_complex_numIdEEEvllNS_24const_host_device_scalarIT3_EEPKT1_PKT2_PKS4_S5_S8_SB_SD_S8_PS4_21rocsparse_index_base_SF_SF_bbb
                                        ; -- End function
	.set _ZN9rocsparseL37csrgeam_fill_numeric_multipass_kernelILj256ELj64Eii21rocsparse_complex_numIdEEEvllNS_24const_host_device_scalarIT3_EEPKT1_PKT2_PKS4_S5_S8_SB_SD_S8_PS4_21rocsparse_index_base_SF_SF_bbb.num_vgpr, 42
	.set _ZN9rocsparseL37csrgeam_fill_numeric_multipass_kernelILj256ELj64Eii21rocsparse_complex_numIdEEEvllNS_24const_host_device_scalarIT3_EEPKT1_PKT2_PKS4_S5_S8_SB_SD_S8_PS4_21rocsparse_index_base_SF_SF_bbb.num_agpr, 0
	.set _ZN9rocsparseL37csrgeam_fill_numeric_multipass_kernelILj256ELj64Eii21rocsparse_complex_numIdEEEvllNS_24const_host_device_scalarIT3_EEPKT1_PKT2_PKS4_S5_S8_SB_SD_S8_PS4_21rocsparse_index_base_SF_SF_bbb.numbered_sgpr, 21
	.set _ZN9rocsparseL37csrgeam_fill_numeric_multipass_kernelILj256ELj64Eii21rocsparse_complex_numIdEEEvllNS_24const_host_device_scalarIT3_EEPKT1_PKT2_PKS4_S5_S8_SB_SD_S8_PS4_21rocsparse_index_base_SF_SF_bbb.num_named_barrier, 0
	.set _ZN9rocsparseL37csrgeam_fill_numeric_multipass_kernelILj256ELj64Eii21rocsparse_complex_numIdEEEvllNS_24const_host_device_scalarIT3_EEPKT1_PKT2_PKS4_S5_S8_SB_SD_S8_PS4_21rocsparse_index_base_SF_SF_bbb.private_seg_size, 24
	.set _ZN9rocsparseL37csrgeam_fill_numeric_multipass_kernelILj256ELj64Eii21rocsparse_complex_numIdEEEvllNS_24const_host_device_scalarIT3_EEPKT1_PKT2_PKS4_S5_S8_SB_SD_S8_PS4_21rocsparse_index_base_SF_SF_bbb.uses_vcc, 1
	.set _ZN9rocsparseL37csrgeam_fill_numeric_multipass_kernelILj256ELj64Eii21rocsparse_complex_numIdEEEvllNS_24const_host_device_scalarIT3_EEPKT1_PKT2_PKS4_S5_S8_SB_SD_S8_PS4_21rocsparse_index_base_SF_SF_bbb.uses_flat_scratch, 1
	.set _ZN9rocsparseL37csrgeam_fill_numeric_multipass_kernelILj256ELj64Eii21rocsparse_complex_numIdEEEvllNS_24const_host_device_scalarIT3_EEPKT1_PKT2_PKS4_S5_S8_SB_SD_S8_PS4_21rocsparse_index_base_SF_SF_bbb.has_dyn_sized_stack, 0
	.set _ZN9rocsparseL37csrgeam_fill_numeric_multipass_kernelILj256ELj64Eii21rocsparse_complex_numIdEEEvllNS_24const_host_device_scalarIT3_EEPKT1_PKT2_PKS4_S5_S8_SB_SD_S8_PS4_21rocsparse_index_base_SF_SF_bbb.has_recursion, 0
	.set _ZN9rocsparseL37csrgeam_fill_numeric_multipass_kernelILj256ELj64Eii21rocsparse_complex_numIdEEEvllNS_24const_host_device_scalarIT3_EEPKT1_PKT2_PKS4_S5_S8_SB_SD_S8_PS4_21rocsparse_index_base_SF_SF_bbb.has_indirect_call, 0
	.section	.AMDGPU.csdata,"",@progbits
; Kernel info:
; codeLenInByte = 1820
; TotalNumSgprs: 23
; NumVgprs: 42
; ScratchSize: 24
; MemoryBound: 0
; FloatMode: 240
; IeeeMode: 1
; LDSByteSize: 4352 bytes/workgroup (compile time only)
; SGPRBlocks: 0
; VGPRBlocks: 2
; NumSGPRsForWavesPerEU: 23
; NumVGPRsForWavesPerEU: 42
; NamedBarCnt: 0
; Occupancy: 16
; WaveLimiterHint : 1
; COMPUTE_PGM_RSRC2:SCRATCH_EN: 1
; COMPUTE_PGM_RSRC2:USER_SGPR: 2
; COMPUTE_PGM_RSRC2:TRAP_HANDLER: 0
; COMPUTE_PGM_RSRC2:TGID_X_EN: 1
; COMPUTE_PGM_RSRC2:TGID_Y_EN: 0
; COMPUTE_PGM_RSRC2:TGID_Z_EN: 0
; COMPUTE_PGM_RSRC2:TIDIG_COMP_CNT: 0
	.section	.text._ZN9rocsparseL37csrgeam_fill_numeric_multipass_kernelILj256ELj32Eli21rocsparse_complex_numIdEEEvllNS_24const_host_device_scalarIT3_EEPKT1_PKT2_PKS4_S5_S8_SB_SD_S8_PS4_21rocsparse_index_base_SF_SF_bbb,"axG",@progbits,_ZN9rocsparseL37csrgeam_fill_numeric_multipass_kernelILj256ELj32Eli21rocsparse_complex_numIdEEEvllNS_24const_host_device_scalarIT3_EEPKT1_PKT2_PKS4_S5_S8_SB_SD_S8_PS4_21rocsparse_index_base_SF_SF_bbb,comdat
	.globl	_ZN9rocsparseL37csrgeam_fill_numeric_multipass_kernelILj256ELj32Eli21rocsparse_complex_numIdEEEvllNS_24const_host_device_scalarIT3_EEPKT1_PKT2_PKS4_S5_S8_SB_SD_S8_PS4_21rocsparse_index_base_SF_SF_bbb ; -- Begin function _ZN9rocsparseL37csrgeam_fill_numeric_multipass_kernelILj256ELj32Eli21rocsparse_complex_numIdEEEvllNS_24const_host_device_scalarIT3_EEPKT1_PKT2_PKS4_S5_S8_SB_SD_S8_PS4_21rocsparse_index_base_SF_SF_bbb
	.p2align	8
	.type	_ZN9rocsparseL37csrgeam_fill_numeric_multipass_kernelILj256ELj32Eli21rocsparse_complex_numIdEEEvllNS_24const_host_device_scalarIT3_EEPKT1_PKT2_PKS4_S5_S8_SB_SD_S8_PS4_21rocsparse_index_base_SF_SF_bbb,@function
_ZN9rocsparseL37csrgeam_fill_numeric_multipass_kernelILj256ELj32Eli21rocsparse_complex_numIdEEEvllNS_24const_host_device_scalarIT3_EEPKT1_PKT2_PKS4_S5_S8_SB_SD_S8_PS4_21rocsparse_index_base_SF_SF_bbb: ; @_ZN9rocsparseL37csrgeam_fill_numeric_multipass_kernelILj256ELj32Eli21rocsparse_complex_numIdEEEvllNS_24const_host_device_scalarIT3_EEPKT1_PKT2_PKS4_S5_S8_SB_SD_S8_PS4_21rocsparse_index_base_SF_SF_bbb
; %bb.0:
	s_clause 0x3
	s_load_b32 s20, s[0:1], 0x7c
	s_load_b256 s[4:11], s[0:1], 0x0
	s_load_b128 s[16:19], s[0:1], 0x38
	s_load_b128 s[12:15], s[0:1], 0x70
	v_mov_b64_e32 v[12:13], 0
	v_mov_b64_e32 v[10:11], 0
	;; [unrolled: 1-line block ×3, first 2 shown]
	v_mbcnt_lo_u32_b32 v1, -1, 0
	s_wait_kmcnt 0x0
	s_bitcmp1_b32 s20, 16
	v_mov_b64_e32 v[2:3], s[8:9]
	s_cselect_b32 s2, -1, 0
	v_mov_b64_e32 v[4:5], s[16:17]
	s_xor_b32 s3, s2, -1
	s_bitcmp0_b32 s15, 0
	v_cndmask_b32_e64 v6, 0, 1, s3
	s_clause 0x1
	scratch_store_b64 off, v[2:3], off
	scratch_store_b64 off, v[4:5], off offset:8
	v_cmp_ne_u32_e32 vcc_lo, 1, v6
	s_cbranch_scc1 .LBB20_3
; %bb.1:
	s_wait_xcnt 0x1
	v_dual_mov_b32 v2, 0 :: v_dual_lshlrev_b32 v3, 20, v1
	v_mov_b64_e32 v[14:15], s[10:11]
	s_and_b32 vcc_lo, exec_lo, vcc_lo
	s_delay_alu instid0(VALU_DEP_2) | instskip(NEXT) | instid1(VALU_DEP_1)
	v_add_nc_u64_e32 v[2:3], src_flat_scratch_base_lo, v[2:3]
	v_cndmask_b32_e64 v3, s9, v3, s2
	s_delay_alu instid0(VALU_DEP_2)
	v_cndmask_b32_e64 v2, s8, v2, s2
	flat_load_b64 v[10:11], v[2:3]
	s_cbranch_vccnz .LBB20_3
; %bb.2:
	s_wait_xcnt 0x0
	v_mov_b32_e32 v2, 0
	flat_load_b64 v[14:15], v2, s[8:9] offset:8
.LBB20_3:
	v_mov_b64_e32 v[16:17], 0
	s_wait_xcnt 0x0
	s_bfe_u32 s8, s20, 0x10008
	s_delay_alu instid0(SALU_CYCLE_1)
	s_cmp_eq_u32 s8, 0
	s_cbranch_scc1 .LBB20_6
; %bb.4:
	v_dual_mov_b32 v2, 8 :: v_dual_lshlrev_b32 v3, 20, v1
	v_mov_b64_e32 v[12:13], s[18:19]
	s_and_not1_b32 vcc_lo, exec_lo, s3
	s_delay_alu instid0(VALU_DEP_2) | instskip(NEXT) | instid1(VALU_DEP_1)
	v_add_nc_u64_e32 v[2:3], src_flat_scratch_base_lo, v[2:3]
	v_cndmask_b32_e64 v3, s17, v3, s2
	s_delay_alu instid0(VALU_DEP_2)
	v_cndmask_b32_e64 v2, s16, v2, s2
	flat_load_b64 v[16:17], v[2:3]
	s_cbranch_vccnz .LBB20_6
; %bb.5:
	s_wait_xcnt 0x0
	v_mov_b32_e32 v2, 0
	flat_load_b64 v[12:13], v2, s[16:17] offset:8
.LBB20_6:
	s_bfe_u32 s2, ttmp6, 0x4000c
	s_and_b32 s3, ttmp6, 15
	s_add_co_i32 s2, s2, 1
	s_getreg_b32 s8, hwreg(HW_REG_IB_STS2, 6, 4)
	s_mul_i32 s2, ttmp9, s2
	s_wait_xcnt 0x0
	v_dual_mov_b32 v21, 0 :: v_dual_lshrrev_b32 v2, 5, v0
	s_add_co_i32 s3, s3, s2
	s_cmp_eq_u32 s8, 0
	s_mov_b32 s17, 0
	s_cselect_b32 s2, ttmp9, s3
	s_delay_alu instid0(SALU_CYCLE_1) | instskip(NEXT) | instid1(SALU_CYCLE_1)
	s_lshl_b32 s2, s2, 3
	v_and_or_b32 v20, 0x7fffff8, s2, v2
	s_mov_b32 s2, exec_lo
	s_delay_alu instid0(VALU_DEP_1)
	v_cmpx_gt_i64_e64 s[4:5], v[20:21]
	s_cbranch_execz .LBB20_37
; %bb.7:
	s_clause 0x2
	s_load_b64 s[2:3], s[0:1], 0x20
	s_load_b64 s[4:5], s[0:1], 0x48
	;; [unrolled: 1-line block ×3, first 2 shown]
	v_lshlrev_b32_e32 v21, 3, v20
	s_mov_b32 s16, s12
	s_wait_kmcnt 0x0
	s_clause 0x1
	global_load_b128 v[6:9], v21, s[2:3]
	global_load_b128 v[2:5], v21, s[4:5]
	global_load_b64 v[18:19], v20, s[8:9] scale_offset
	s_wait_xcnt 0x2
	s_mov_b32 s2, exec_lo
	s_wait_loadcnt 0x2
	s_wait_xcnt 0x0
	v_cmpx_ge_i64_e64 v[6:7], v[8:9]
	s_xor_b32 s2, exec_lo, s2
	s_delay_alu instid0(SALU_CYCLE_1)
	s_or_saveexec_b32 s4, s2
	s_load_b64 s[2:3], s[0:1], 0x28
	v_sub_nc_u64_e64 v[20:21], v[6:7], s[16:17]
	v_mov_b32_e32 v22, s6
	s_xor_b32 exec_lo, exec_lo, s4
	s_cbranch_execz .LBB20_9
; %bb.8:
	s_wait_kmcnt 0x0
	s_delay_alu instid0(VALU_DEP_2)
	v_lshl_add_u64 v[6:7], v[20:21], 2, s[2:3]
	global_load_b32 v6, v[6:7], off
	s_wait_loadcnt 0x0
	v_subrev_nc_u32_e32 v22, s12, v6
.LBB20_9:
	s_wait_xcnt 0x0
	s_or_b32 exec_lo, exec_lo, s4
	v_mov_b32_e32 v30, s6
	s_mov_b32 s21, 0
	s_mov_b32 s20, s13
	s_mov_b32 s4, exec_lo
	s_wait_loadcnt 0x1
	v_cmpx_ge_i64_e64 v[2:3], v[4:5]
	s_xor_b32 s4, exec_lo, s4
; %bb.10:
	v_mov_b32_e32 v30, s6
; %bb.11:
	s_or_saveexec_b32 s4, s4
	s_clause 0x1
	s_load_b128 s[8:11], s[0:1], 0x50
	s_load_b64 s[18:19], s[0:1], 0x30
	v_sub_nc_u64_e64 v[2:3], v[2:3], s[20:21]
	v_mov_b32_e32 v23, v30
	s_xor_b32 exec_lo, exec_lo, s4
	s_cbranch_execz .LBB20_13
; %bb.12:
	s_wait_kmcnt 0x0
	s_delay_alu instid0(VALU_DEP_2)
	v_lshl_add_u64 v[6:7], v[2:3], 2, s[8:9]
	global_load_b32 v6, v[6:7], off
	s_wait_loadcnt 0x0
	v_subrev_nc_u32_e32 v23, s13, v6
.LBB20_13:
	s_wait_xcnt 0x0
	s_or_b32 exec_lo, exec_lo, s4
	v_xor_b32_e32 v25, 16, v1
	v_and_b32_e32 v24, 0xe0, v0
	v_sub_nc_u64_e64 v[6:7], v[8:9], s[16:17]
	v_xor_b32_e32 v26, 1, v1
	s_load_b64 s[4:5], s[0:1], 0x68
	v_cmp_gt_i32_e32 vcc_lo, 32, v25
	v_and_b32_e32 v8, 31, v0
	v_bitop3_b32 v0, v0, 31, v0 bitop3:0xc
	v_dual_mov_b32 v9, 0 :: v_dual_lshlrev_b32 v32, 4, v24
	v_or_b32_e32 v31, 0x1000, v24
	s_mov_b32 s15, 0
	s_delay_alu instid0(VALU_DEP_3)
	v_lshrrev_b32_e64 v34, v0, -1
	v_xor_b32_e32 v0, 8, v1
	v_min_i32_e32 v24, v23, v22
	v_add_nc_u64_e32 v[22:23], v[2:3], v[8:9]
	v_cndmask_b32_e32 v2, v1, v25, vcc_lo
	v_xor_b32_e32 v3, 4, v1
	v_cmp_gt_i32_e32 vcc_lo, 32, v0
	v_sub_nc_u64_e64 v[4:5], v[4:5], s[20:21]
	s_wait_loadcnt 0x0
	v_sub_nc_u64_e64 v[18:19], v[18:19], s[14:15]
	v_lshlrev_b32_e32 v35, 2, v2
	v_add_nc_u64_e32 v[20:21], v[20:21], v[8:9]
	v_dual_cndmask_b32 v0, v1, v0, vcc_lo :: v_dual_bitop2_b32 v25, 2, v1 bitop3:0x14
	v_cmp_gt_i32_e32 vcc_lo, 32, v3
	v_lshl_or_b32 v33, v8, 4, v32
	s_delay_alu instid0(VALU_DEP_3)
	v_dual_mov_b32 v2, v9 :: v_dual_lshlrev_b32 v36, 2, v0
	v_dual_mov_b32 v41, 1 :: v_dual_cndmask_b32 v3, v1, v3, vcc_lo
	v_cmp_gt_i32_e32 vcc_lo, 32, v25
	v_add_nc_u32_e32 v40, v31, v8
	s_wait_kmcnt 0x0
	s_add_nc_u64 s[16:17], s[18:19], 8
	s_add_nc_u64 s[10:11], s[10:11], 8
	v_dual_lshlrev_b32 v37, 2, v3 :: v_dual_cndmask_b32 v25, v1, v25, vcc_lo
	v_cmp_gt_i32_e32 vcc_lo, 32, v26
	v_dual_mov_b32 v0, v9 :: v_dual_mov_b32 v3, v9
	s_mov_b32 s1, 0
	s_delay_alu instid0(VALU_DEP_3) | instskip(NEXT) | instid1(VALU_DEP_1)
	v_dual_cndmask_b32 v1, v1, v26 :: v_dual_lshlrev_b32 v38, 2, v25
	v_dual_lshlrev_b32 v39, 2, v1 :: v_dual_mov_b32 v1, v9
	s_branch .LBB20_15
.LBB20_14:                              ;   in Loop: Header=BB20_15 Depth=1
	s_wait_xcnt 0x0
	s_or_b32 exec_lo, exec_lo, s14
	ds_bpermute_b32 v8, v35, v25
	s_bcnt1_i32_b32 s14, vcc_lo
	s_delay_alu instid0(SALU_CYCLE_1)
	v_add_nc_u64_e32 v[18:19], s[14:15], v[18:19]
	s_wait_dscnt 0x0
	v_min_i32_e32 v8, v8, v25
	ds_bpermute_b32 v24, v36, v8
	s_wait_dscnt 0x0
	v_min_i32_e32 v8, v24, v8
	ds_bpermute_b32 v24, v37, v8
	;; [unrolled: 3-line block ×4, first 2 shown]
	s_wait_dscnt 0x0
	v_min_i32_e32 v24, v24, v8
	s_delay_alu instid0(VALU_DEP_1) | instskip(NEXT) | instid1(VALU_DEP_1)
	v_ashrrev_i32_e32 v25, 31, v24
	v_cmp_le_i64_e64 s0, s[6:7], v[24:25]
	s_or_b32 s1, s0, s1
	s_delay_alu instid0(SALU_CYCLE_1)
	s_and_not1_b32 exec_lo, exec_lo, s1
	s_cbranch_execz .LBB20_37
.LBB20_15:                              ; =>This Loop Header: Depth=1
                                        ;     Child Loop BB20_18 Depth 2
                                        ;     Child Loop BB20_28 Depth 2
	v_mov_b32_e32 v25, v30
	s_mov_b32 s14, exec_lo
	ds_store_b8 v40, v9
	ds_store_b128 v33, v[0:3]
	s_wait_storecnt_dscnt 0x0
	v_cmpx_lt_i64_e64 v[20:21], v[6:7]
	s_cbranch_execz .LBB20_25
; %bb.16:                               ;   in Loop: Header=BB20_15 Depth=1
	v_lshl_add_u64 v[26:27], v[20:21], 2, s[2:3]
	v_lshl_add_u64 v[28:29], v[20:21], 4, s[16:17]
	v_mov_b32_e32 v25, v30
	s_mov_b32 s18, 0
	s_branch .LBB20_18
.LBB20_17:                              ;   in Loop: Header=BB20_18 Depth=2
	s_or_b32 exec_lo, exec_lo, s19
	s_delay_alu instid0(SALU_CYCLE_1) | instskip(NEXT) | instid1(SALU_CYCLE_1)
	s_and_b32 s0, exec_lo, s0
	s_or_b32 s18, s0, s18
	s_delay_alu instid0(SALU_CYCLE_1)
	s_and_not1_b32 exec_lo, exec_lo, s18
	s_cbranch_execz .LBB20_24
.LBB20_18:                              ;   Parent Loop BB20_15 Depth=1
                                        ; =>  This Inner Loop Header: Depth=2
	global_load_b32 v8, v[26:27], off
	s_wait_loadcnt 0x0
	v_subrev_nc_u32_e32 v42, s12, v8
	s_delay_alu instid0(VALU_DEP_1) | instskip(NEXT) | instid1(VALU_DEP_1)
	v_sub_nc_u32_e32 v8, v42, v24
	v_cmp_lt_u32_e64 s0, 31, v8
	v_cmp_gt_u32_e32 vcc_lo, 32, v8
	s_wait_xcnt 0x0
	s_and_saveexec_b32 s19, s0
	s_delay_alu instid0(SALU_CYCLE_1)
	s_xor_b32 s0, exec_lo, s19
	s_cbranch_execnz .LBB20_21
; %bb.19:                               ;   in Loop: Header=BB20_18 Depth=2
	s_and_not1_saveexec_b32 s0, s0
	s_cbranch_execnz .LBB20_22
.LBB20_20:                              ;   in Loop: Header=BB20_18 Depth=2
	s_or_b32 exec_lo, exec_lo, s0
	s_mov_b32 s0, -1
	s_and_saveexec_b32 s19, vcc_lo
	s_cbranch_execz .LBB20_17
	s_branch .LBB20_23
.LBB20_21:                              ;   in Loop: Header=BB20_18 Depth=2
	v_min_i32_e32 v25, v42, v25
                                        ; implicit-def: $vgpr8
	s_and_not1_saveexec_b32 s0, s0
	s_cbranch_execz .LBB20_20
.LBB20_22:                              ;   in Loop: Header=BB20_18 Depth=2
	global_load_b128 v[42:45], v[28:29], off offset:-8
	s_wait_loadcnt 0x0
	v_mul_f64_e64 v[46:47], v[44:45], -v[14:15]
	v_mul_f64_e32 v[48:49], v[10:11], v[44:45]
	s_delay_alu instid0(VALU_DEP_2) | instskip(NEXT) | instid1(VALU_DEP_2)
	v_fmac_f64_e32 v[46:47], v[10:11], v[42:43]
	v_fmac_f64_e32 v[48:49], v[14:15], v[42:43]
	v_add_nc_u32_e32 v42, v31, v8
	v_lshl_add_u32 v8, v8, 4, v32
	ds_store_b8 v42, v41
	ds_store_b128 v8, v[46:49]
	s_wait_xcnt 0x0
	s_or_b32 exec_lo, exec_lo, s0
	s_mov_b32 s0, -1
	s_and_saveexec_b32 s19, vcc_lo
	s_cbranch_execz .LBB20_17
.LBB20_23:                              ;   in Loop: Header=BB20_18 Depth=2
	v_add_nc_u64_e32 v[20:21], 32, v[20:21]
	v_add_nc_u64_e32 v[26:27], 0x80, v[26:27]
	;; [unrolled: 1-line block ×3, first 2 shown]
	s_delay_alu instid0(VALU_DEP_3)
	v_cmp_ge_i64_e32 vcc_lo, v[20:21], v[6:7]
	s_or_not1_b32 s0, vcc_lo, exec_lo
	s_branch .LBB20_17
.LBB20_24:                              ;   in Loop: Header=BB20_15 Depth=1
	s_or_b32 exec_lo, exec_lo, s18
.LBB20_25:                              ;   in Loop: Header=BB20_15 Depth=1
	s_delay_alu instid0(SALU_CYCLE_1) | instskip(NEXT) | instid1(SALU_CYCLE_1)
	s_or_b32 exec_lo, exec_lo, s14
	s_mov_b32 s14, exec_lo
	s_wait_dscnt 0x0
	v_cmpx_lt_i64_e64 v[22:23], v[4:5]
	s_cbranch_execz .LBB20_35
; %bb.26:                               ;   in Loop: Header=BB20_15 Depth=1
	v_lshl_add_u64 v[26:27], v[22:23], 2, s[8:9]
	v_lshl_add_u64 v[28:29], v[22:23], 4, s[10:11]
	s_mov_b32 s18, 0
	s_branch .LBB20_28
.LBB20_27:                              ;   in Loop: Header=BB20_28 Depth=2
	s_or_b32 exec_lo, exec_lo, s19
	s_delay_alu instid0(SALU_CYCLE_1) | instskip(NEXT) | instid1(SALU_CYCLE_1)
	s_and_b32 s0, exec_lo, s0
	s_or_b32 s18, s0, s18
	s_delay_alu instid0(SALU_CYCLE_1)
	s_and_not1_b32 exec_lo, exec_lo, s18
	s_cbranch_execz .LBB20_34
.LBB20_28:                              ;   Parent Loop BB20_15 Depth=1
                                        ; =>  This Inner Loop Header: Depth=2
	global_load_b32 v8, v[26:27], off
	s_wait_loadcnt 0x0
	v_subrev_nc_u32_e32 v42, s13, v8
	s_delay_alu instid0(VALU_DEP_1) | instskip(NEXT) | instid1(VALU_DEP_1)
	v_sub_nc_u32_e32 v8, v42, v24
	v_cmp_lt_u32_e64 s0, 31, v8
	v_cmp_gt_u32_e32 vcc_lo, 32, v8
	s_wait_xcnt 0x0
	s_and_saveexec_b32 s19, s0
	s_delay_alu instid0(SALU_CYCLE_1)
	s_xor_b32 s0, exec_lo, s19
	s_cbranch_execnz .LBB20_31
; %bb.29:                               ;   in Loop: Header=BB20_28 Depth=2
	s_and_not1_saveexec_b32 s0, s0
	s_cbranch_execnz .LBB20_32
.LBB20_30:                              ;   in Loop: Header=BB20_28 Depth=2
	s_or_b32 exec_lo, exec_lo, s0
	s_mov_b32 s0, -1
	s_and_saveexec_b32 s19, vcc_lo
	s_cbranch_execz .LBB20_27
	s_branch .LBB20_33
.LBB20_31:                              ;   in Loop: Header=BB20_28 Depth=2
	v_min_i32_e32 v25, v42, v25
                                        ; implicit-def: $vgpr8
	s_and_not1_saveexec_b32 s0, s0
	s_cbranch_execz .LBB20_30
.LBB20_32:                              ;   in Loop: Header=BB20_28 Depth=2
	global_load_b128 v[42:45], v[28:29], off offset:-8
	v_lshl_add_u32 v50, v8, 4, v32
	v_add_nc_u32_e32 v8, v31, v8
	ds_load_b128 v[46:49], v50
	s_wait_loadcnt_dscnt 0x0
	v_fmac_f64_e32 v[46:47], v[16:17], v[42:43]
	v_fmac_f64_e32 v[48:49], v[12:13], v[42:43]
	s_delay_alu instid0(VALU_DEP_2) | instskip(NEXT) | instid1(VALU_DEP_2)
	v_fma_f64 v[46:47], -v[12:13], v[44:45], v[46:47]
	v_fmac_f64_e32 v[48:49], v[16:17], v[44:45]
	ds_store_b8 v8, v41
	ds_store_b128 v50, v[46:49]
	s_wait_xcnt 0x0
	s_or_b32 exec_lo, exec_lo, s0
	s_mov_b32 s0, -1
	s_and_saveexec_b32 s19, vcc_lo
	s_cbranch_execz .LBB20_27
.LBB20_33:                              ;   in Loop: Header=BB20_28 Depth=2
	v_add_nc_u64_e32 v[22:23], 32, v[22:23]
	v_add_nc_u64_e32 v[26:27], 0x80, v[26:27]
	;; [unrolled: 1-line block ×3, first 2 shown]
	s_delay_alu instid0(VALU_DEP_3)
	v_cmp_ge_i64_e32 vcc_lo, v[22:23], v[4:5]
	s_or_not1_b32 s0, vcc_lo, exec_lo
	s_branch .LBB20_27
.LBB20_34:                              ;   in Loop: Header=BB20_15 Depth=1
	s_or_b32 exec_lo, exec_lo, s18
.LBB20_35:                              ;   in Loop: Header=BB20_15 Depth=1
	s_delay_alu instid0(SALU_CYCLE_1)
	s_or_b32 exec_lo, exec_lo, s14
	s_wait_dscnt 0x0
	ds_load_u8 v8, v40
	s_mov_b32 s14, exec_lo
	s_wait_dscnt 0x0
	v_and_b32_e32 v24, 1, v8
	v_cmp_ne_u16_e32 vcc_lo, 0, v8
	s_delay_alu instid0(VALU_DEP_2)
	v_cmpx_eq_u32_e32 1, v24
	s_cbranch_execz .LBB20_14
; %bb.36:                               ;   in Loop: Header=BB20_15 Depth=1
	v_and_b32_e32 v8, vcc_lo, v34
	ds_load_2addr_b64 v[26:29], v33 offset1:1
	v_lshl_add_u64 v[42:43], v[18:19], 4, s[4:5]
	v_bcnt_u32_b32 v8, v8, 0
	s_delay_alu instid0(VALU_DEP_1) | instskip(NEXT) | instid1(VALU_DEP_1)
	v_lshlrev_b32_e32 v8, 4, v8
	v_add_nc_u64_e32 v[42:43], v[42:43], v[8:9]
	s_wait_dscnt 0x0
	global_store_b128 v[42:43], v[26:29], off offset:-16
	s_branch .LBB20_14
.LBB20_37:
	s_endpgm
	.section	.rodata,"a",@progbits
	.p2align	6, 0x0
	.amdhsa_kernel _ZN9rocsparseL37csrgeam_fill_numeric_multipass_kernelILj256ELj32Eli21rocsparse_complex_numIdEEEvllNS_24const_host_device_scalarIT3_EEPKT1_PKT2_PKS4_S5_S8_SB_SD_S8_PS4_21rocsparse_index_base_SF_SF_bbb
		.amdhsa_group_segment_fixed_size 4352
		.amdhsa_private_segment_fixed_size 24
		.amdhsa_kernarg_size 128
		.amdhsa_user_sgpr_count 2
		.amdhsa_user_sgpr_dispatch_ptr 0
		.amdhsa_user_sgpr_queue_ptr 0
		.amdhsa_user_sgpr_kernarg_segment_ptr 1
		.amdhsa_user_sgpr_dispatch_id 0
		.amdhsa_user_sgpr_kernarg_preload_length 0
		.amdhsa_user_sgpr_kernarg_preload_offset 0
		.amdhsa_user_sgpr_private_segment_size 0
		.amdhsa_wavefront_size32 1
		.amdhsa_uses_dynamic_stack 0
		.amdhsa_enable_private_segment 1
		.amdhsa_system_sgpr_workgroup_id_x 1
		.amdhsa_system_sgpr_workgroup_id_y 0
		.amdhsa_system_sgpr_workgroup_id_z 0
		.amdhsa_system_sgpr_workgroup_info 0
		.amdhsa_system_vgpr_workitem_id 0
		.amdhsa_next_free_vgpr 51
		.amdhsa_next_free_sgpr 22
		.amdhsa_named_barrier_count 0
		.amdhsa_reserve_vcc 1
		.amdhsa_float_round_mode_32 0
		.amdhsa_float_round_mode_16_64 0
		.amdhsa_float_denorm_mode_32 3
		.amdhsa_float_denorm_mode_16_64 3
		.amdhsa_fp16_overflow 0
		.amdhsa_memory_ordered 1
		.amdhsa_forward_progress 1
		.amdhsa_inst_pref_size 15
		.amdhsa_round_robin_scheduling 0
		.amdhsa_exception_fp_ieee_invalid_op 0
		.amdhsa_exception_fp_denorm_src 0
		.amdhsa_exception_fp_ieee_div_zero 0
		.amdhsa_exception_fp_ieee_overflow 0
		.amdhsa_exception_fp_ieee_underflow 0
		.amdhsa_exception_fp_ieee_inexact 0
		.amdhsa_exception_int_div_zero 0
	.end_amdhsa_kernel
	.section	.text._ZN9rocsparseL37csrgeam_fill_numeric_multipass_kernelILj256ELj32Eli21rocsparse_complex_numIdEEEvllNS_24const_host_device_scalarIT3_EEPKT1_PKT2_PKS4_S5_S8_SB_SD_S8_PS4_21rocsparse_index_base_SF_SF_bbb,"axG",@progbits,_ZN9rocsparseL37csrgeam_fill_numeric_multipass_kernelILj256ELj32Eli21rocsparse_complex_numIdEEEvllNS_24const_host_device_scalarIT3_EEPKT1_PKT2_PKS4_S5_S8_SB_SD_S8_PS4_21rocsparse_index_base_SF_SF_bbb,comdat
.Lfunc_end20:
	.size	_ZN9rocsparseL37csrgeam_fill_numeric_multipass_kernelILj256ELj32Eli21rocsparse_complex_numIdEEEvllNS_24const_host_device_scalarIT3_EEPKT1_PKT2_PKS4_S5_S8_SB_SD_S8_PS4_21rocsparse_index_base_SF_SF_bbb, .Lfunc_end20-_ZN9rocsparseL37csrgeam_fill_numeric_multipass_kernelILj256ELj32Eli21rocsparse_complex_numIdEEEvllNS_24const_host_device_scalarIT3_EEPKT1_PKT2_PKS4_S5_S8_SB_SD_S8_PS4_21rocsparse_index_base_SF_SF_bbb
                                        ; -- End function
	.set _ZN9rocsparseL37csrgeam_fill_numeric_multipass_kernelILj256ELj32Eli21rocsparse_complex_numIdEEEvllNS_24const_host_device_scalarIT3_EEPKT1_PKT2_PKS4_S5_S8_SB_SD_S8_PS4_21rocsparse_index_base_SF_SF_bbb.num_vgpr, 51
	.set _ZN9rocsparseL37csrgeam_fill_numeric_multipass_kernelILj256ELj32Eli21rocsparse_complex_numIdEEEvllNS_24const_host_device_scalarIT3_EEPKT1_PKT2_PKS4_S5_S8_SB_SD_S8_PS4_21rocsparse_index_base_SF_SF_bbb.num_agpr, 0
	.set _ZN9rocsparseL37csrgeam_fill_numeric_multipass_kernelILj256ELj32Eli21rocsparse_complex_numIdEEEvllNS_24const_host_device_scalarIT3_EEPKT1_PKT2_PKS4_S5_S8_SB_SD_S8_PS4_21rocsparse_index_base_SF_SF_bbb.numbered_sgpr, 22
	.set _ZN9rocsparseL37csrgeam_fill_numeric_multipass_kernelILj256ELj32Eli21rocsparse_complex_numIdEEEvllNS_24const_host_device_scalarIT3_EEPKT1_PKT2_PKS4_S5_S8_SB_SD_S8_PS4_21rocsparse_index_base_SF_SF_bbb.num_named_barrier, 0
	.set _ZN9rocsparseL37csrgeam_fill_numeric_multipass_kernelILj256ELj32Eli21rocsparse_complex_numIdEEEvllNS_24const_host_device_scalarIT3_EEPKT1_PKT2_PKS4_S5_S8_SB_SD_S8_PS4_21rocsparse_index_base_SF_SF_bbb.private_seg_size, 24
	.set _ZN9rocsparseL37csrgeam_fill_numeric_multipass_kernelILj256ELj32Eli21rocsparse_complex_numIdEEEvllNS_24const_host_device_scalarIT3_EEPKT1_PKT2_PKS4_S5_S8_SB_SD_S8_PS4_21rocsparse_index_base_SF_SF_bbb.uses_vcc, 1
	.set _ZN9rocsparseL37csrgeam_fill_numeric_multipass_kernelILj256ELj32Eli21rocsparse_complex_numIdEEEvllNS_24const_host_device_scalarIT3_EEPKT1_PKT2_PKS4_S5_S8_SB_SD_S8_PS4_21rocsparse_index_base_SF_SF_bbb.uses_flat_scratch, 1
	.set _ZN9rocsparseL37csrgeam_fill_numeric_multipass_kernelILj256ELj32Eli21rocsparse_complex_numIdEEEvllNS_24const_host_device_scalarIT3_EEPKT1_PKT2_PKS4_S5_S8_SB_SD_S8_PS4_21rocsparse_index_base_SF_SF_bbb.has_dyn_sized_stack, 0
	.set _ZN9rocsparseL37csrgeam_fill_numeric_multipass_kernelILj256ELj32Eli21rocsparse_complex_numIdEEEvllNS_24const_host_device_scalarIT3_EEPKT1_PKT2_PKS4_S5_S8_SB_SD_S8_PS4_21rocsparse_index_base_SF_SF_bbb.has_recursion, 0
	.set _ZN9rocsparseL37csrgeam_fill_numeric_multipass_kernelILj256ELj32Eli21rocsparse_complex_numIdEEEvllNS_24const_host_device_scalarIT3_EEPKT1_PKT2_PKS4_S5_S8_SB_SD_S8_PS4_21rocsparse_index_base_SF_SF_bbb.has_indirect_call, 0
	.section	.AMDGPU.csdata,"",@progbits
; Kernel info:
; codeLenInByte = 1868
; TotalNumSgprs: 24
; NumVgprs: 51
; ScratchSize: 24
; MemoryBound: 0
; FloatMode: 240
; IeeeMode: 1
; LDSByteSize: 4352 bytes/workgroup (compile time only)
; SGPRBlocks: 0
; VGPRBlocks: 3
; NumSGPRsForWavesPerEU: 24
; NumVGPRsForWavesPerEU: 51
; NamedBarCnt: 0
; Occupancy: 16
; WaveLimiterHint : 1
; COMPUTE_PGM_RSRC2:SCRATCH_EN: 1
; COMPUTE_PGM_RSRC2:USER_SGPR: 2
; COMPUTE_PGM_RSRC2:TRAP_HANDLER: 0
; COMPUTE_PGM_RSRC2:TGID_X_EN: 1
; COMPUTE_PGM_RSRC2:TGID_Y_EN: 0
; COMPUTE_PGM_RSRC2:TGID_Z_EN: 0
; COMPUTE_PGM_RSRC2:TIDIG_COMP_CNT: 0
	.section	.text._ZN9rocsparseL37csrgeam_fill_numeric_multipass_kernelILj256ELj64Eli21rocsparse_complex_numIdEEEvllNS_24const_host_device_scalarIT3_EEPKT1_PKT2_PKS4_S5_S8_SB_SD_S8_PS4_21rocsparse_index_base_SF_SF_bbb,"axG",@progbits,_ZN9rocsparseL37csrgeam_fill_numeric_multipass_kernelILj256ELj64Eli21rocsparse_complex_numIdEEEvllNS_24const_host_device_scalarIT3_EEPKT1_PKT2_PKS4_S5_S8_SB_SD_S8_PS4_21rocsparse_index_base_SF_SF_bbb,comdat
	.globl	_ZN9rocsparseL37csrgeam_fill_numeric_multipass_kernelILj256ELj64Eli21rocsparse_complex_numIdEEEvllNS_24const_host_device_scalarIT3_EEPKT1_PKT2_PKS4_S5_S8_SB_SD_S8_PS4_21rocsparse_index_base_SF_SF_bbb ; -- Begin function _ZN9rocsparseL37csrgeam_fill_numeric_multipass_kernelILj256ELj64Eli21rocsparse_complex_numIdEEEvllNS_24const_host_device_scalarIT3_EEPKT1_PKT2_PKS4_S5_S8_SB_SD_S8_PS4_21rocsparse_index_base_SF_SF_bbb
	.p2align	8
	.type	_ZN9rocsparseL37csrgeam_fill_numeric_multipass_kernelILj256ELj64Eli21rocsparse_complex_numIdEEEvllNS_24const_host_device_scalarIT3_EEPKT1_PKT2_PKS4_S5_S8_SB_SD_S8_PS4_21rocsparse_index_base_SF_SF_bbb,@function
_ZN9rocsparseL37csrgeam_fill_numeric_multipass_kernelILj256ELj64Eli21rocsparse_complex_numIdEEEvllNS_24const_host_device_scalarIT3_EEPKT1_PKT2_PKS4_S5_S8_SB_SD_S8_PS4_21rocsparse_index_base_SF_SF_bbb: ; @_ZN9rocsparseL37csrgeam_fill_numeric_multipass_kernelILj256ELj64Eli21rocsparse_complex_numIdEEEvllNS_24const_host_device_scalarIT3_EEPKT1_PKT2_PKS4_S5_S8_SB_SD_S8_PS4_21rocsparse_index_base_SF_SF_bbb
; %bb.0:
	s_clause 0x3
	s_load_b32 s20, s[0:1], 0x7c
	s_load_b256 s[4:11], s[0:1], 0x0
	s_load_b128 s[16:19], s[0:1], 0x38
	s_load_b128 s[12:15], s[0:1], 0x70
	v_mov_b64_e32 v[12:13], 0
	v_mov_b64_e32 v[10:11], 0
	;; [unrolled: 1-line block ×3, first 2 shown]
	v_mbcnt_lo_u32_b32 v1, -1, 0
	s_wait_kmcnt 0x0
	s_bitcmp1_b32 s20, 16
	v_mov_b64_e32 v[2:3], s[8:9]
	s_cselect_b32 s2, -1, 0
	v_mov_b64_e32 v[4:5], s[16:17]
	s_xor_b32 s3, s2, -1
	s_bitcmp0_b32 s15, 0
	v_cndmask_b32_e64 v6, 0, 1, s3
	s_clause 0x1
	scratch_store_b64 off, v[2:3], off
	scratch_store_b64 off, v[4:5], off offset:8
	v_cmp_ne_u32_e32 vcc_lo, 1, v6
	s_cbranch_scc1 .LBB21_3
; %bb.1:
	s_wait_xcnt 0x1
	v_dual_mov_b32 v2, 0 :: v_dual_lshlrev_b32 v3, 20, v1
	v_mov_b64_e32 v[14:15], s[10:11]
	s_and_b32 vcc_lo, exec_lo, vcc_lo
	s_delay_alu instid0(VALU_DEP_2) | instskip(NEXT) | instid1(VALU_DEP_1)
	v_add_nc_u64_e32 v[2:3], src_flat_scratch_base_lo, v[2:3]
	v_cndmask_b32_e64 v3, s9, v3, s2
	s_delay_alu instid0(VALU_DEP_2)
	v_cndmask_b32_e64 v2, s8, v2, s2
	flat_load_b64 v[10:11], v[2:3]
	s_cbranch_vccnz .LBB21_3
; %bb.2:
	s_wait_xcnt 0x0
	v_mov_b32_e32 v2, 0
	flat_load_b64 v[14:15], v2, s[8:9] offset:8
.LBB21_3:
	v_mov_b64_e32 v[16:17], 0
	s_wait_xcnt 0x0
	s_bfe_u32 s8, s20, 0x10008
	s_delay_alu instid0(SALU_CYCLE_1)
	s_cmp_eq_u32 s8, 0
	s_cbranch_scc1 .LBB21_6
; %bb.4:
	v_dual_mov_b32 v2, 8 :: v_dual_lshlrev_b32 v3, 20, v1
	v_mov_b64_e32 v[12:13], s[18:19]
	s_and_not1_b32 vcc_lo, exec_lo, s3
	s_delay_alu instid0(VALU_DEP_2) | instskip(NEXT) | instid1(VALU_DEP_1)
	v_add_nc_u64_e32 v[2:3], src_flat_scratch_base_lo, v[2:3]
	v_cndmask_b32_e64 v3, s17, v3, s2
	s_delay_alu instid0(VALU_DEP_2)
	v_cndmask_b32_e64 v2, s16, v2, s2
	flat_load_b64 v[16:17], v[2:3]
	s_cbranch_vccnz .LBB21_6
; %bb.5:
	s_wait_xcnt 0x0
	v_mov_b32_e32 v2, 0
	flat_load_b64 v[12:13], v2, s[16:17] offset:8
.LBB21_6:
	s_bfe_u32 s2, ttmp6, 0x4000c
	s_and_b32 s3, ttmp6, 15
	s_add_co_i32 s2, s2, 1
	s_getreg_b32 s8, hwreg(HW_REG_IB_STS2, 6, 4)
	s_mul_i32 s2, ttmp9, s2
	s_wait_xcnt 0x0
	v_dual_mov_b32 v21, 0 :: v_dual_lshrrev_b32 v2, 6, v0
	s_add_co_i32 s3, s3, s2
	s_cmp_eq_u32 s8, 0
	s_mov_b32 s17, 0
	s_cselect_b32 s2, ttmp9, s3
	s_delay_alu instid0(SALU_CYCLE_1) | instskip(NEXT) | instid1(SALU_CYCLE_1)
	s_lshl_b32 s2, s2, 2
	v_and_or_b32 v20, 0x3fffffc, s2, v2
	s_mov_b32 s2, exec_lo
	s_delay_alu instid0(VALU_DEP_1)
	v_cmpx_gt_i64_e64 s[4:5], v[20:21]
	s_cbranch_execz .LBB21_37
; %bb.7:
	s_clause 0x2
	s_load_b64 s[2:3], s[0:1], 0x20
	s_load_b64 s[4:5], s[0:1], 0x48
	;; [unrolled: 1-line block ×3, first 2 shown]
	v_lshlrev_b32_e32 v21, 3, v20
	s_mov_b32 s16, s12
	s_wait_kmcnt 0x0
	s_clause 0x1
	global_load_b128 v[2:5], v21, s[2:3]
	global_load_b128 v[6:9], v21, s[4:5]
	global_load_b64 v[18:19], v20, s[8:9] scale_offset
	s_wait_xcnt 0x2
	s_mov_b32 s2, exec_lo
	s_wait_loadcnt 0x2
	s_wait_xcnt 0x0
	v_cmpx_ge_i64_e64 v[2:3], v[4:5]
	s_xor_b32 s2, exec_lo, s2
	s_delay_alu instid0(SALU_CYCLE_1)
	s_or_saveexec_b32 s4, s2
	s_load_b64 s[2:3], s[0:1], 0x28
	v_sub_nc_u64_e64 v[2:3], v[2:3], s[16:17]
	v_mov_b32_e32 v20, s6
	s_xor_b32 exec_lo, exec_lo, s4
	s_cbranch_execz .LBB21_9
; %bb.8:
	s_wait_kmcnt 0x0
	s_delay_alu instid0(VALU_DEP_2)
	v_lshl_add_u64 v[20:21], v[2:3], 2, s[2:3]
	global_load_b32 v20, v[20:21], off
	s_wait_loadcnt 0x0
	v_subrev_nc_u32_e32 v20, s12, v20
.LBB21_9:
	s_or_b32 exec_lo, exec_lo, s4
	v_mov_b32_e32 v32, s6
	s_mov_b32 s21, 0
	s_mov_b32 s20, s13
	s_mov_b32 s4, exec_lo
	s_wait_loadcnt 0x1
	v_cmpx_ge_i64_e64 v[6:7], v[8:9]
	s_xor_b32 s4, exec_lo, s4
; %bb.10:
	v_mov_b32_e32 v32, s6
; %bb.11:
	s_or_saveexec_b32 s4, s4
	s_clause 0x1
	s_load_b128 s[8:11], s[0:1], 0x50
	s_load_b64 s[18:19], s[0:1], 0x30
	v_sub_nc_u64_e64 v[22:23], v[6:7], s[20:21]
	v_mov_b32_e32 v21, v32
	s_xor_b32 exec_lo, exec_lo, s4
	s_cbranch_execz .LBB21_13
; %bb.12:
	s_wait_kmcnt 0x0
	s_delay_alu instid0(VALU_DEP_2)
	v_lshl_add_u64 v[6:7], v[22:23], 2, s[8:9]
	global_load_b32 v6, v[6:7], off
	s_wait_loadcnt 0x0
	v_subrev_nc_u32_e32 v21, s13, v6
.LBB21_13:
	s_wait_xcnt 0x0
	s_or_b32 exec_lo, exec_lo, s4
	v_and_b32_e32 v24, 0xc0, v0
	v_sub_nc_u64_e64 v[6:7], v[8:9], s[20:21]
	v_and_b32_e32 v8, 63, v0
	v_min_i32_e32 v26, v21, v20
	v_bitop3_b32 v0, v0, 63, v0 bitop3:0xc
	v_dual_mov_b32 v9, 0 :: v_dual_lshlrev_b32 v34, 4, v24
	v_or_b32_e32 v33, 0x1000, v24
	v_xor_b32_e32 v27, 2, v1
	s_load_b64 s[4:5], s[0:1], 0x68
	s_mov_b32 s15, 0
	v_add_nc_u64_e32 v[20:21], v[2:3], v[8:9]
	v_xor_b32_e32 v3, 16, v1
	v_or_b32_e32 v24, 32, v1
	v_sub_nc_u64_e64 v[4:5], v[4:5], s[16:17]
	s_wait_loadcnt 0x0
	v_sub_nc_u64_e64 v[18:19], v[18:19], s[14:15]
	s_wait_kmcnt 0x0
	s_add_nc_u64 s[16:17], s[18:19], 8
	s_add_nc_u64 s[10:11], s[10:11], 8
	v_cmp_gt_i32_e32 vcc_lo, 32, v24
	s_mov_b32 s1, 0
	v_dual_mov_b32 v42, 1 :: v_dual_cndmask_b32 v2, v1, v24, vcc_lo
	v_lshrrev_b64 v[24:25], v0, -1
	v_xor_b32_e32 v0, 8, v1
	v_cmp_gt_i32_e32 vcc_lo, 32, v3
	s_delay_alu instid0(VALU_DEP_4) | instskip(SKIP_4) | instid1(VALU_DEP_2)
	v_lshlrev_b32_e32 v25, 2, v2
	v_add_nc_u64_e32 v[22:23], v[22:23], v[8:9]
	v_lshl_or_b32 v35, v8, 4, v34
	v_dual_cndmask_b32 v2, v1, v3, vcc_lo :: v_dual_bitop2_b32 v3, 4, v1 bitop3:0x14
	v_cmp_gt_i32_e32 vcc_lo, 32, v0
	v_dual_add_nc_u32 v41, v33, v8 :: v_dual_lshlrev_b32 v36, 2, v2
	v_mov_b32_e32 v2, v9
	v_cndmask_b32_e32 v0, v1, v0, vcc_lo
	v_cmp_gt_i32_e32 vcc_lo, 32, v3
	s_delay_alu instid0(VALU_DEP_2) | instskip(SKIP_2) | instid1(VALU_DEP_2)
	v_dual_lshlrev_b32 v37, 2, v0 :: v_dual_bitop2_b32 v28, 1, v1 bitop3:0x14
	v_cndmask_b32_e32 v3, v1, v3, vcc_lo
	v_cmp_gt_i32_e32 vcc_lo, 32, v27
	v_dual_mov_b32 v0, v9 :: v_dual_lshlrev_b32 v38, 2, v3
	v_cndmask_b32_e32 v27, v1, v27, vcc_lo
	v_cmp_gt_i32_e32 vcc_lo, 32, v28
	v_mov_b32_e32 v3, v9
	s_delay_alu instid0(VALU_DEP_3) | instskip(NEXT) | instid1(VALU_DEP_1)
	v_dual_cndmask_b32 v1, v1, v28, vcc_lo :: v_dual_lshlrev_b32 v39, 2, v27
	v_dual_mov_b32 v1, v9 :: v_dual_lshlrev_b32 v40, 2, v1
	s_branch .LBB21_15
.LBB21_14:                              ;   in Loop: Header=BB21_15 Depth=1
	s_wait_xcnt 0x0
	s_or_b32 exec_lo, exec_lo, s14
	ds_bpermute_b32 v8, v25, v27
	s_bcnt1_i32_b32 s14, vcc_lo
	s_delay_alu instid0(SALU_CYCLE_1)
	v_add_nc_u64_e32 v[18:19], s[14:15], v[18:19]
	s_wait_dscnt 0x0
	v_min_i32_e32 v8, v8, v27
	ds_bpermute_b32 v26, v36, v8
	s_wait_dscnt 0x0
	v_min_i32_e32 v8, v26, v8
	ds_bpermute_b32 v26, v37, v8
	;; [unrolled: 3-line block ×5, first 2 shown]
	s_wait_dscnt 0x0
	v_min_i32_e32 v26, v26, v8
	s_delay_alu instid0(VALU_DEP_1) | instskip(NEXT) | instid1(VALU_DEP_1)
	v_ashrrev_i32_e32 v27, 31, v26
	v_cmp_le_i64_e64 s0, s[6:7], v[26:27]
	s_or_b32 s1, s0, s1
	s_delay_alu instid0(SALU_CYCLE_1)
	s_and_not1_b32 exec_lo, exec_lo, s1
	s_cbranch_execz .LBB21_37
.LBB21_15:                              ; =>This Loop Header: Depth=1
                                        ;     Child Loop BB21_18 Depth 2
                                        ;     Child Loop BB21_28 Depth 2
	v_mov_b32_e32 v27, v32
	s_mov_b32 s14, exec_lo
	ds_store_b8 v41, v9
	ds_store_b128 v35, v[0:3]
	s_wait_storecnt_dscnt 0x0
	v_cmpx_lt_i64_e64 v[20:21], v[4:5]
	s_cbranch_execz .LBB21_25
; %bb.16:                               ;   in Loop: Header=BB21_15 Depth=1
	v_lshl_add_u64 v[28:29], v[20:21], 2, s[2:3]
	v_lshl_add_u64 v[30:31], v[20:21], 4, s[16:17]
	v_mov_b32_e32 v27, v32
	s_mov_b32 s18, 0
	s_branch .LBB21_18
.LBB21_17:                              ;   in Loop: Header=BB21_18 Depth=2
	s_or_b32 exec_lo, exec_lo, s19
	s_delay_alu instid0(SALU_CYCLE_1) | instskip(NEXT) | instid1(SALU_CYCLE_1)
	s_and_b32 s0, exec_lo, s0
	s_or_b32 s18, s0, s18
	s_delay_alu instid0(SALU_CYCLE_1)
	s_and_not1_b32 exec_lo, exec_lo, s18
	s_cbranch_execz .LBB21_24
.LBB21_18:                              ;   Parent Loop BB21_15 Depth=1
                                        ; =>  This Inner Loop Header: Depth=2
	global_load_b32 v8, v[28:29], off
	s_wait_loadcnt 0x0
	v_subrev_nc_u32_e32 v43, s12, v8
	s_delay_alu instid0(VALU_DEP_1) | instskip(NEXT) | instid1(VALU_DEP_1)
	v_sub_nc_u32_e32 v8, v43, v26
	v_cmp_lt_u32_e64 s0, 63, v8
	v_cmp_gt_u32_e32 vcc_lo, 64, v8
	s_wait_xcnt 0x0
	s_and_saveexec_b32 s19, s0
	s_delay_alu instid0(SALU_CYCLE_1)
	s_xor_b32 s0, exec_lo, s19
	s_cbranch_execnz .LBB21_21
; %bb.19:                               ;   in Loop: Header=BB21_18 Depth=2
	s_and_not1_saveexec_b32 s0, s0
	s_cbranch_execnz .LBB21_22
.LBB21_20:                              ;   in Loop: Header=BB21_18 Depth=2
	s_or_b32 exec_lo, exec_lo, s0
	s_mov_b32 s0, -1
	s_and_saveexec_b32 s19, vcc_lo
	s_cbranch_execz .LBB21_17
	s_branch .LBB21_23
.LBB21_21:                              ;   in Loop: Header=BB21_18 Depth=2
	v_min_i32_e32 v27, v43, v27
                                        ; implicit-def: $vgpr8
	s_and_not1_saveexec_b32 s0, s0
	s_cbranch_execz .LBB21_20
.LBB21_22:                              ;   in Loop: Header=BB21_18 Depth=2
	global_load_b128 v[44:47], v[30:31], off offset:-8
	v_add_nc_u32_e32 v43, v33, v8
	v_lshl_add_u32 v8, v8, 4, v34
	s_wait_loadcnt 0x0
	v_mul_f64_e64 v[48:49], v[46:47], -v[14:15]
	v_mul_f64_e32 v[50:51], v[10:11], v[46:47]
	s_delay_alu instid0(VALU_DEP_2) | instskip(NEXT) | instid1(VALU_DEP_2)
	v_fmac_f64_e32 v[48:49], v[10:11], v[44:45]
	v_fmac_f64_e32 v[50:51], v[14:15], v[44:45]
	ds_store_b8 v43, v42
	ds_store_b128 v8, v[48:51]
	s_wait_xcnt 0x0
	s_or_b32 exec_lo, exec_lo, s0
	s_mov_b32 s0, -1
	s_and_saveexec_b32 s19, vcc_lo
	s_cbranch_execz .LBB21_17
.LBB21_23:                              ;   in Loop: Header=BB21_18 Depth=2
	v_add_nc_u64_e32 v[20:21], 64, v[20:21]
	v_add_nc_u64_e32 v[28:29], 0x100, v[28:29]
	;; [unrolled: 1-line block ×3, first 2 shown]
	s_delay_alu instid0(VALU_DEP_3)
	v_cmp_ge_i64_e32 vcc_lo, v[20:21], v[4:5]
	s_or_not1_b32 s0, vcc_lo, exec_lo
	s_branch .LBB21_17
.LBB21_24:                              ;   in Loop: Header=BB21_15 Depth=1
	s_or_b32 exec_lo, exec_lo, s18
.LBB21_25:                              ;   in Loop: Header=BB21_15 Depth=1
	s_delay_alu instid0(SALU_CYCLE_1) | instskip(NEXT) | instid1(SALU_CYCLE_1)
	s_or_b32 exec_lo, exec_lo, s14
	s_mov_b32 s14, exec_lo
	s_wait_dscnt 0x0
	v_cmpx_lt_i64_e64 v[22:23], v[6:7]
	s_cbranch_execz .LBB21_35
; %bb.26:                               ;   in Loop: Header=BB21_15 Depth=1
	v_lshl_add_u64 v[28:29], v[22:23], 2, s[8:9]
	v_lshl_add_u64 v[30:31], v[22:23], 4, s[10:11]
	s_mov_b32 s18, 0
	s_branch .LBB21_28
.LBB21_27:                              ;   in Loop: Header=BB21_28 Depth=2
	s_or_b32 exec_lo, exec_lo, s19
	s_delay_alu instid0(SALU_CYCLE_1) | instskip(NEXT) | instid1(SALU_CYCLE_1)
	s_and_b32 s0, exec_lo, s0
	s_or_b32 s18, s0, s18
	s_delay_alu instid0(SALU_CYCLE_1)
	s_and_not1_b32 exec_lo, exec_lo, s18
	s_cbranch_execz .LBB21_34
.LBB21_28:                              ;   Parent Loop BB21_15 Depth=1
                                        ; =>  This Inner Loop Header: Depth=2
	global_load_b32 v8, v[28:29], off
	s_wait_loadcnt 0x0
	v_subrev_nc_u32_e32 v43, s13, v8
	s_delay_alu instid0(VALU_DEP_1) | instskip(NEXT) | instid1(VALU_DEP_1)
	v_sub_nc_u32_e32 v8, v43, v26
	v_cmp_lt_u32_e64 s0, 63, v8
	v_cmp_gt_u32_e32 vcc_lo, 64, v8
	s_wait_xcnt 0x0
	s_and_saveexec_b32 s19, s0
	s_delay_alu instid0(SALU_CYCLE_1)
	s_xor_b32 s0, exec_lo, s19
	s_cbranch_execnz .LBB21_31
; %bb.29:                               ;   in Loop: Header=BB21_28 Depth=2
	s_and_not1_saveexec_b32 s0, s0
	s_cbranch_execnz .LBB21_32
.LBB21_30:                              ;   in Loop: Header=BB21_28 Depth=2
	s_or_b32 exec_lo, exec_lo, s0
	s_mov_b32 s0, -1
	s_and_saveexec_b32 s19, vcc_lo
	s_cbranch_execz .LBB21_27
	s_branch .LBB21_33
.LBB21_31:                              ;   in Loop: Header=BB21_28 Depth=2
	v_min_i32_e32 v27, v43, v27
                                        ; implicit-def: $vgpr8
	s_and_not1_saveexec_b32 s0, s0
	s_cbranch_execz .LBB21_30
.LBB21_32:                              ;   in Loop: Header=BB21_28 Depth=2
	global_load_b128 v[44:47], v[30:31], off offset:-8
	v_lshl_add_u32 v43, v8, 4, v34
	v_add_nc_u32_e32 v8, v33, v8
	ds_load_b128 v[48:51], v43
	s_wait_loadcnt_dscnt 0x0
	v_fmac_f64_e32 v[48:49], v[16:17], v[44:45]
	v_fmac_f64_e32 v[50:51], v[12:13], v[44:45]
	s_delay_alu instid0(VALU_DEP_2) | instskip(NEXT) | instid1(VALU_DEP_2)
	v_fma_f64 v[48:49], -v[12:13], v[46:47], v[48:49]
	v_fmac_f64_e32 v[50:51], v[16:17], v[46:47]
	ds_store_b8 v8, v42
	ds_store_b128 v43, v[48:51]
	s_wait_xcnt 0x0
	s_or_b32 exec_lo, exec_lo, s0
	s_mov_b32 s0, -1
	s_and_saveexec_b32 s19, vcc_lo
	s_cbranch_execz .LBB21_27
.LBB21_33:                              ;   in Loop: Header=BB21_28 Depth=2
	v_add_nc_u64_e32 v[22:23], 64, v[22:23]
	v_add_nc_u64_e32 v[28:29], 0x100, v[28:29]
	;; [unrolled: 1-line block ×3, first 2 shown]
	s_delay_alu instid0(VALU_DEP_3)
	v_cmp_ge_i64_e32 vcc_lo, v[22:23], v[6:7]
	s_or_not1_b32 s0, vcc_lo, exec_lo
	s_branch .LBB21_27
.LBB21_34:                              ;   in Loop: Header=BB21_15 Depth=1
	s_or_b32 exec_lo, exec_lo, s18
.LBB21_35:                              ;   in Loop: Header=BB21_15 Depth=1
	s_delay_alu instid0(SALU_CYCLE_1)
	s_or_b32 exec_lo, exec_lo, s14
	s_wait_dscnt 0x0
	ds_load_u8 v8, v41
	s_mov_b32 s14, exec_lo
	s_wait_dscnt 0x0
	v_and_b32_e32 v26, 1, v8
	v_cmp_ne_u16_e32 vcc_lo, 0, v8
	s_delay_alu instid0(VALU_DEP_2)
	v_cmpx_eq_u32_e32 1, v26
	s_cbranch_execz .LBB21_14
; %bb.36:                               ;   in Loop: Header=BB21_15 Depth=1
	v_and_b32_e32 v8, vcc_lo, v24
	ds_load_2addr_b64 v[28:31], v35 offset1:1
	v_lshl_add_u64 v[44:45], v[18:19], 4, s[4:5]
	v_bcnt_u32_b32 v8, v8, 0
	s_delay_alu instid0(VALU_DEP_1) | instskip(NEXT) | instid1(VALU_DEP_1)
	v_lshlrev_b32_e32 v8, 4, v8
	v_add_nc_u64_e32 v[44:45], v[44:45], v[8:9]
	s_wait_dscnt 0x0
	global_store_b128 v[44:45], v[28:31], off offset:-16
	s_branch .LBB21_14
.LBB21_37:
	s_endpgm
	.section	.rodata,"a",@progbits
	.p2align	6, 0x0
	.amdhsa_kernel _ZN9rocsparseL37csrgeam_fill_numeric_multipass_kernelILj256ELj64Eli21rocsparse_complex_numIdEEEvllNS_24const_host_device_scalarIT3_EEPKT1_PKT2_PKS4_S5_S8_SB_SD_S8_PS4_21rocsparse_index_base_SF_SF_bbb
		.amdhsa_group_segment_fixed_size 4352
		.amdhsa_private_segment_fixed_size 24
		.amdhsa_kernarg_size 128
		.amdhsa_user_sgpr_count 2
		.amdhsa_user_sgpr_dispatch_ptr 0
		.amdhsa_user_sgpr_queue_ptr 0
		.amdhsa_user_sgpr_kernarg_segment_ptr 1
		.amdhsa_user_sgpr_dispatch_id 0
		.amdhsa_user_sgpr_kernarg_preload_length 0
		.amdhsa_user_sgpr_kernarg_preload_offset 0
		.amdhsa_user_sgpr_private_segment_size 0
		.amdhsa_wavefront_size32 1
		.amdhsa_uses_dynamic_stack 0
		.amdhsa_enable_private_segment 1
		.amdhsa_system_sgpr_workgroup_id_x 1
		.amdhsa_system_sgpr_workgroup_id_y 0
		.amdhsa_system_sgpr_workgroup_id_z 0
		.amdhsa_system_sgpr_workgroup_info 0
		.amdhsa_system_vgpr_workitem_id 0
		.amdhsa_next_free_vgpr 52
		.amdhsa_next_free_sgpr 22
		.amdhsa_named_barrier_count 0
		.amdhsa_reserve_vcc 1
		.amdhsa_float_round_mode_32 0
		.amdhsa_float_round_mode_16_64 0
		.amdhsa_float_denorm_mode_32 3
		.amdhsa_float_denorm_mode_16_64 3
		.amdhsa_fp16_overflow 0
		.amdhsa_memory_ordered 1
		.amdhsa_forward_progress 1
		.amdhsa_inst_pref_size 15
		.amdhsa_round_robin_scheduling 0
		.amdhsa_exception_fp_ieee_invalid_op 0
		.amdhsa_exception_fp_denorm_src 0
		.amdhsa_exception_fp_ieee_div_zero 0
		.amdhsa_exception_fp_ieee_overflow 0
		.amdhsa_exception_fp_ieee_underflow 0
		.amdhsa_exception_fp_ieee_inexact 0
		.amdhsa_exception_int_div_zero 0
	.end_amdhsa_kernel
	.section	.text._ZN9rocsparseL37csrgeam_fill_numeric_multipass_kernelILj256ELj64Eli21rocsparse_complex_numIdEEEvllNS_24const_host_device_scalarIT3_EEPKT1_PKT2_PKS4_S5_S8_SB_SD_S8_PS4_21rocsparse_index_base_SF_SF_bbb,"axG",@progbits,_ZN9rocsparseL37csrgeam_fill_numeric_multipass_kernelILj256ELj64Eli21rocsparse_complex_numIdEEEvllNS_24const_host_device_scalarIT3_EEPKT1_PKT2_PKS4_S5_S8_SB_SD_S8_PS4_21rocsparse_index_base_SF_SF_bbb,comdat
.Lfunc_end21:
	.size	_ZN9rocsparseL37csrgeam_fill_numeric_multipass_kernelILj256ELj64Eli21rocsparse_complex_numIdEEEvllNS_24const_host_device_scalarIT3_EEPKT1_PKT2_PKS4_S5_S8_SB_SD_S8_PS4_21rocsparse_index_base_SF_SF_bbb, .Lfunc_end21-_ZN9rocsparseL37csrgeam_fill_numeric_multipass_kernelILj256ELj64Eli21rocsparse_complex_numIdEEEvllNS_24const_host_device_scalarIT3_EEPKT1_PKT2_PKS4_S5_S8_SB_SD_S8_PS4_21rocsparse_index_base_SF_SF_bbb
                                        ; -- End function
	.set _ZN9rocsparseL37csrgeam_fill_numeric_multipass_kernelILj256ELj64Eli21rocsparse_complex_numIdEEEvllNS_24const_host_device_scalarIT3_EEPKT1_PKT2_PKS4_S5_S8_SB_SD_S8_PS4_21rocsparse_index_base_SF_SF_bbb.num_vgpr, 52
	.set _ZN9rocsparseL37csrgeam_fill_numeric_multipass_kernelILj256ELj64Eli21rocsparse_complex_numIdEEEvllNS_24const_host_device_scalarIT3_EEPKT1_PKT2_PKS4_S5_S8_SB_SD_S8_PS4_21rocsparse_index_base_SF_SF_bbb.num_agpr, 0
	.set _ZN9rocsparseL37csrgeam_fill_numeric_multipass_kernelILj256ELj64Eli21rocsparse_complex_numIdEEEvllNS_24const_host_device_scalarIT3_EEPKT1_PKT2_PKS4_S5_S8_SB_SD_S8_PS4_21rocsparse_index_base_SF_SF_bbb.numbered_sgpr, 22
	.set _ZN9rocsparseL37csrgeam_fill_numeric_multipass_kernelILj256ELj64Eli21rocsparse_complex_numIdEEEvllNS_24const_host_device_scalarIT3_EEPKT1_PKT2_PKS4_S5_S8_SB_SD_S8_PS4_21rocsparse_index_base_SF_SF_bbb.num_named_barrier, 0
	.set _ZN9rocsparseL37csrgeam_fill_numeric_multipass_kernelILj256ELj64Eli21rocsparse_complex_numIdEEEvllNS_24const_host_device_scalarIT3_EEPKT1_PKT2_PKS4_S5_S8_SB_SD_S8_PS4_21rocsparse_index_base_SF_SF_bbb.private_seg_size, 24
	.set _ZN9rocsparseL37csrgeam_fill_numeric_multipass_kernelILj256ELj64Eli21rocsparse_complex_numIdEEEvllNS_24const_host_device_scalarIT3_EEPKT1_PKT2_PKS4_S5_S8_SB_SD_S8_PS4_21rocsparse_index_base_SF_SF_bbb.uses_vcc, 1
	.set _ZN9rocsparseL37csrgeam_fill_numeric_multipass_kernelILj256ELj64Eli21rocsparse_complex_numIdEEEvllNS_24const_host_device_scalarIT3_EEPKT1_PKT2_PKS4_S5_S8_SB_SD_S8_PS4_21rocsparse_index_base_SF_SF_bbb.uses_flat_scratch, 1
	.set _ZN9rocsparseL37csrgeam_fill_numeric_multipass_kernelILj256ELj64Eli21rocsparse_complex_numIdEEEvllNS_24const_host_device_scalarIT3_EEPKT1_PKT2_PKS4_S5_S8_SB_SD_S8_PS4_21rocsparse_index_base_SF_SF_bbb.has_dyn_sized_stack, 0
	.set _ZN9rocsparseL37csrgeam_fill_numeric_multipass_kernelILj256ELj64Eli21rocsparse_complex_numIdEEEvllNS_24const_host_device_scalarIT3_EEPKT1_PKT2_PKS4_S5_S8_SB_SD_S8_PS4_21rocsparse_index_base_SF_SF_bbb.has_recursion, 0
	.set _ZN9rocsparseL37csrgeam_fill_numeric_multipass_kernelILj256ELj64Eli21rocsparse_complex_numIdEEEvllNS_24const_host_device_scalarIT3_EEPKT1_PKT2_PKS4_S5_S8_SB_SD_S8_PS4_21rocsparse_index_base_SF_SF_bbb.has_indirect_call, 0
	.section	.AMDGPU.csdata,"",@progbits
; Kernel info:
; codeLenInByte = 1900
; TotalNumSgprs: 24
; NumVgprs: 52
; ScratchSize: 24
; MemoryBound: 0
; FloatMode: 240
; IeeeMode: 1
; LDSByteSize: 4352 bytes/workgroup (compile time only)
; SGPRBlocks: 0
; VGPRBlocks: 3
; NumSGPRsForWavesPerEU: 24
; NumVGPRsForWavesPerEU: 52
; NamedBarCnt: 0
; Occupancy: 16
; WaveLimiterHint : 1
; COMPUTE_PGM_RSRC2:SCRATCH_EN: 1
; COMPUTE_PGM_RSRC2:USER_SGPR: 2
; COMPUTE_PGM_RSRC2:TRAP_HANDLER: 0
; COMPUTE_PGM_RSRC2:TGID_X_EN: 1
; COMPUTE_PGM_RSRC2:TGID_Y_EN: 0
; COMPUTE_PGM_RSRC2:TGID_Z_EN: 0
; COMPUTE_PGM_RSRC2:TIDIG_COMP_CNT: 0
	.section	.text._ZN9rocsparseL37csrgeam_fill_numeric_multipass_kernelILj256ELj32Ell21rocsparse_complex_numIdEEEvllNS_24const_host_device_scalarIT3_EEPKT1_PKT2_PKS4_S5_S8_SB_SD_S8_PS4_21rocsparse_index_base_SF_SF_bbb,"axG",@progbits,_ZN9rocsparseL37csrgeam_fill_numeric_multipass_kernelILj256ELj32Ell21rocsparse_complex_numIdEEEvllNS_24const_host_device_scalarIT3_EEPKT1_PKT2_PKS4_S5_S8_SB_SD_S8_PS4_21rocsparse_index_base_SF_SF_bbb,comdat
	.globl	_ZN9rocsparseL37csrgeam_fill_numeric_multipass_kernelILj256ELj32Ell21rocsparse_complex_numIdEEEvllNS_24const_host_device_scalarIT3_EEPKT1_PKT2_PKS4_S5_S8_SB_SD_S8_PS4_21rocsparse_index_base_SF_SF_bbb ; -- Begin function _ZN9rocsparseL37csrgeam_fill_numeric_multipass_kernelILj256ELj32Ell21rocsparse_complex_numIdEEEvllNS_24const_host_device_scalarIT3_EEPKT1_PKT2_PKS4_S5_S8_SB_SD_S8_PS4_21rocsparse_index_base_SF_SF_bbb
	.p2align	8
	.type	_ZN9rocsparseL37csrgeam_fill_numeric_multipass_kernelILj256ELj32Ell21rocsparse_complex_numIdEEEvllNS_24const_host_device_scalarIT3_EEPKT1_PKT2_PKS4_S5_S8_SB_SD_S8_PS4_21rocsparse_index_base_SF_SF_bbb,@function
_ZN9rocsparseL37csrgeam_fill_numeric_multipass_kernelILj256ELj32Ell21rocsparse_complex_numIdEEEvllNS_24const_host_device_scalarIT3_EEPKT1_PKT2_PKS4_S5_S8_SB_SD_S8_PS4_21rocsparse_index_base_SF_SF_bbb: ; @_ZN9rocsparseL37csrgeam_fill_numeric_multipass_kernelILj256ELj32Ell21rocsparse_complex_numIdEEEvllNS_24const_host_device_scalarIT3_EEPKT1_PKT2_PKS4_S5_S8_SB_SD_S8_PS4_21rocsparse_index_base_SF_SF_bbb
; %bb.0:
	s_clause 0x3
	s_load_b32 s20, s[0:1], 0x7c
	s_load_b256 s[4:11], s[0:1], 0x0
	s_load_b128 s[16:19], s[0:1], 0x38
	s_load_b128 s[12:15], s[0:1], 0x70
	v_mov_b64_e32 v[12:13], 0
	v_mov_b64_e32 v[10:11], 0
	v_mov_b64_e32 v[14:15], 0
	v_mbcnt_lo_u32_b32 v1, -1, 0
	s_wait_kmcnt 0x0
	s_bitcmp1_b32 s20, 16
	v_mov_b64_e32 v[2:3], s[8:9]
	s_cselect_b32 s2, -1, 0
	v_mov_b64_e32 v[4:5], s[16:17]
	s_xor_b32 s3, s2, -1
	s_bitcmp0_b32 s15, 0
	v_cndmask_b32_e64 v6, 0, 1, s3
	s_clause 0x1
	scratch_store_b64 off, v[2:3], off
	scratch_store_b64 off, v[4:5], off offset:8
	v_cmp_ne_u32_e32 vcc_lo, 1, v6
	s_cbranch_scc1 .LBB22_3
; %bb.1:
	s_wait_xcnt 0x1
	v_dual_mov_b32 v2, 0 :: v_dual_lshlrev_b32 v3, 20, v1
	v_mov_b64_e32 v[14:15], s[10:11]
	s_and_b32 vcc_lo, exec_lo, vcc_lo
	s_delay_alu instid0(VALU_DEP_2) | instskip(NEXT) | instid1(VALU_DEP_1)
	v_add_nc_u64_e32 v[2:3], src_flat_scratch_base_lo, v[2:3]
	v_cndmask_b32_e64 v3, s9, v3, s2
	s_delay_alu instid0(VALU_DEP_2)
	v_cndmask_b32_e64 v2, s8, v2, s2
	flat_load_b64 v[10:11], v[2:3]
	s_cbranch_vccnz .LBB22_3
; %bb.2:
	s_wait_xcnt 0x0
	v_mov_b32_e32 v2, 0
	flat_load_b64 v[14:15], v2, s[8:9] offset:8
.LBB22_3:
	v_mov_b64_e32 v[16:17], 0
	s_wait_xcnt 0x0
	s_bfe_u32 s8, s20, 0x10008
	s_delay_alu instid0(SALU_CYCLE_1)
	s_cmp_eq_u32 s8, 0
	s_cbranch_scc1 .LBB22_6
; %bb.4:
	v_dual_mov_b32 v2, 8 :: v_dual_lshlrev_b32 v3, 20, v1
	v_mov_b64_e32 v[12:13], s[18:19]
	s_and_not1_b32 vcc_lo, exec_lo, s3
	s_delay_alu instid0(VALU_DEP_2) | instskip(NEXT) | instid1(VALU_DEP_1)
	v_add_nc_u64_e32 v[2:3], src_flat_scratch_base_lo, v[2:3]
	v_cndmask_b32_e64 v3, s17, v3, s2
	s_delay_alu instid0(VALU_DEP_2)
	v_cndmask_b32_e64 v2, s16, v2, s2
	flat_load_b64 v[16:17], v[2:3]
	s_cbranch_vccnz .LBB22_6
; %bb.5:
	s_wait_xcnt 0x0
	v_mov_b32_e32 v2, 0
	flat_load_b64 v[12:13], v2, s[16:17] offset:8
.LBB22_6:
	s_bfe_u32 s2, ttmp6, 0x4000c
	s_and_b32 s3, ttmp6, 15
	s_add_co_i32 s2, s2, 1
	s_getreg_b32 s8, hwreg(HW_REG_IB_STS2, 6, 4)
	s_mul_i32 s2, ttmp9, s2
	s_wait_xcnt 0x0
	v_dual_mov_b32 v21, 0 :: v_dual_lshrrev_b32 v2, 5, v0
	s_add_co_i32 s3, s3, s2
	s_cmp_eq_u32 s8, 0
	s_cselect_b32 s2, ttmp9, s3
	s_mov_b32 s3, 0
	s_lshl_b32 s2, s2, 3
	s_delay_alu instid0(SALU_CYCLE_1) | instskip(SKIP_1) | instid1(VALU_DEP_1)
	v_and_or_b32 v20, 0x7fffff8, s2, v2
	s_mov_b32 s2, exec_lo
	v_cmpx_gt_i64_e64 s[4:5], v[20:21]
	s_cbranch_execz .LBB22_35
; %bb.7:
	s_clause 0x2
	s_load_b128 s[8:11], s[0:1], 0x20
	s_load_b64 s[4:5], s[0:1], 0x48
	s_load_b64 s[16:17], s[0:1], 0x60
	v_lshlrev_b32_e32 v21, 3, v20
	s_mov_b32 s2, s12
	v_mov_b64_e32 v[22:23], s[6:7]
	s_wait_kmcnt 0x0
	s_clause 0x1
	global_load_b128 v[6:9], v21, s[8:9]
	global_load_b128 v[2:5], v21, s[4:5]
	global_load_b64 v[18:19], v20, s[16:17] scale_offset
	s_wait_xcnt 0x1
	s_mov_b32 s4, exec_lo
	s_wait_loadcnt 0x2
	s_wait_xcnt 0x0
	v_sub_nc_u64_e64 v[20:21], v[6:7], s[2:3]
	v_cmpx_lt_i64_e64 v[6:7], v[8:9]
	s_cbranch_execz .LBB22_9
; %bb.8:
	s_delay_alu instid0(VALU_DEP_2)
	v_lshl_add_u64 v[6:7], v[20:21], 3, s[10:11]
	global_load_b64 v[6:7], v[6:7], off
	s_wait_loadcnt 0x0
	v_sub_nc_u64_e64 v[22:23], v[6:7], s[2:3]
.LBB22_9:
	s_wait_xcnt 0x0
	s_or_b32 exec_lo, exec_lo, s4
	s_clause 0x1
	s_load_b128 s[16:19], s[0:1], 0x50
	s_load_b64 s[20:21], s[0:1], 0x30
	s_mov_b32 s15, 0
	s_mov_b32 s4, s13
	;; [unrolled: 1-line block ×3, first 2 shown]
	s_wait_loadcnt 0x1
	v_cmp_lt_i64_e32 vcc_lo, v[2:3], v[4:5]
	v_sub_nc_u64_e64 v[26:27], v[2:3], s[4:5]
	v_mov_b64_e32 v[2:3], s[6:7]
	s_and_saveexec_b32 s8, vcc_lo
	s_cbranch_execz .LBB22_11
; %bb.10:
	s_wait_kmcnt 0x0
	s_delay_alu instid0(VALU_DEP_2)
	v_lshl_add_u64 v[2:3], v[26:27], 3, s[16:17]
	global_load_b64 v[2:3], v[2:3], off
	s_wait_loadcnt 0x0
	v_sub_nc_u64_e64 v[2:3], v[2:3], s[4:5]
.LBB22_11:
	s_or_b32 exec_lo, exec_lo, s8
	v_and_b32_e32 v24, 0xe0, v0
	v_sub_nc_u64_e64 v[6:7], v[8:9], s[2:3]
	v_dual_mov_b32 v9, 0 :: v_dual_bitop2_b32 v8, 31, v0 bitop3:0x40
	v_bitop3_b32 v0, v0, 31, v0 bitop3:0xc
	s_delay_alu instid0(VALU_DEP_4)
	v_or_b32_e32 v36, 0x1000, v24
	v_lshlrev_b32_e32 v37, 4, v24
	v_min_i64 v[24:25], v[2:3], v[22:23]
	v_xor_b32_e32 v2, 16, v1
	v_lshrrev_b32_e64 v39, v0, -1
	v_add_nc_u64_e32 v[22:23], v[26:27], v[8:9]
	s_load_b64 s[8:9], s[0:1], 0x68
	v_sub_nc_u64_e64 v[4:5], v[4:5], s[4:5]
	v_cmp_gt_i32_e32 vcc_lo, 32, v2
	v_xor_b32_e32 v0, 8, v1
	s_wait_loadcnt 0x0
	v_sub_nc_u64_e64 v[18:19], v[18:19], s[14:15]
	v_add_nc_u64_e32 v[20:21], v[20:21], v[8:9]
	v_lshl_or_b32 v38, v8, 4, v37
	v_cndmask_b32_e32 v2, v1, v2, vcc_lo
	v_cmp_gt_i32_e32 vcc_lo, 32, v0
	v_dual_add_nc_u32 v45, v36, v8 :: v_dual_bitop2_b32 v3, 4, v1 bitop3:0x14
	s_wait_kmcnt 0x0
	s_add_nc_u64 s[12:13], s[20:21], 8
	s_add_nc_u64 s[18:19], s[18:19], 8
	v_cndmask_b32_e32 v0, v1, v0, vcc_lo
	v_cmp_gt_i32_e32 vcc_lo, 32, v3
	v_xor_b32_e32 v26, 2, v1
	s_mov_b32 s1, 0
	v_dual_mov_b32 v46, 1 :: v_dual_lshlrev_b32 v40, 2, v2
	v_cndmask_b32_e32 v3, v1, v3, vcc_lo
	s_delay_alu instid0(VALU_DEP_3) | instskip(SKIP_1) | instid1(VALU_DEP_3)
	v_cmp_gt_i32_e32 vcc_lo, 32, v26
	v_dual_lshlrev_b32 v41, 2, v0 :: v_dual_bitop2_b32 v27, 1, v1 bitop3:0x14
	v_dual_mov_b32 v0, v9 :: v_dual_lshlrev_b32 v42, 2, v3
	v_cndmask_b32_e32 v26, v1, v26, vcc_lo
	s_delay_alu instid0(VALU_DEP_3) | instskip(SKIP_1) | instid1(VALU_DEP_3)
	v_cmp_gt_i32_e32 vcc_lo, 32, v27
	v_dual_mov_b32 v3, v9 :: v_dual_mov_b32 v2, v9
	v_dual_cndmask_b32 v1, v1, v27, vcc_lo :: v_dual_lshlrev_b32 v43, 2, v26
	s_delay_alu instid0(VALU_DEP_1)
	v_dual_mov_b32 v1, v9 :: v_dual_lshlrev_b32 v44, 2, v1
	s_branch .LBB22_13
.LBB22_12:                              ;   in Loop: Header=BB22_13 Depth=1
	s_wait_xcnt 0x0
	s_or_b32 exec_lo, exec_lo, s14
	ds_bpermute_b32 v24, v40, v26
	ds_bpermute_b32 v25, v40, v27
	s_bcnt1_i32_b32 s14, vcc_lo
	s_delay_alu instid0(SALU_CYCLE_1)
	v_add_nc_u64_e32 v[18:19], s[14:15], v[18:19]
	s_wait_dscnt 0x0
	v_min_i64 v[24:25], v[24:25], v[26:27]
	ds_bpermute_b32 v26, v41, v24
	ds_bpermute_b32 v27, v41, v25
	s_wait_dscnt 0x0
	v_min_i64 v[24:25], v[26:27], v[24:25]
	ds_bpermute_b32 v26, v42, v24
	ds_bpermute_b32 v27, v42, v25
	;; [unrolled: 4-line block ×4, first 2 shown]
	s_wait_dscnt 0x0
	v_min_i64 v[24:25], v[26:27], v[24:25]
	s_delay_alu instid0(VALU_DEP_1) | instskip(SKIP_1) | instid1(SALU_CYCLE_1)
	v_cmp_le_i64_e64 s0, s[6:7], v[24:25]
	s_or_b32 s1, s0, s1
	s_and_not1_b32 exec_lo, exec_lo, s1
	s_cbranch_execz .LBB22_35
.LBB22_13:                              ; =>This Loop Header: Depth=1
                                        ;     Child Loop BB22_16 Depth 2
                                        ;     Child Loop BB22_26 Depth 2
	v_mov_b64_e32 v[26:27], s[6:7]
	s_mov_b32 s14, exec_lo
	ds_store_b8 v45, v9
	ds_store_b128 v38, v[0:3]
	s_wait_storecnt_dscnt 0x0
	v_cmpx_lt_i64_e64 v[20:21], v[6:7]
	s_cbranch_execz .LBB22_23
; %bb.14:                               ;   in Loop: Header=BB22_13 Depth=1
	v_mov_b64_e32 v[26:27], s[6:7]
	v_lshl_add_u64 v[28:29], v[20:21], 3, s[10:11]
	v_lshl_add_u64 v[30:31], v[20:21], 4, s[12:13]
	s_mov_b32 s20, 0
	s_branch .LBB22_16
.LBB22_15:                              ;   in Loop: Header=BB22_16 Depth=2
	s_or_b32 exec_lo, exec_lo, s21
	s_delay_alu instid0(SALU_CYCLE_1) | instskip(NEXT) | instid1(SALU_CYCLE_1)
	s_and_b32 s0, exec_lo, s0
	s_or_b32 s20, s0, s20
	s_delay_alu instid0(SALU_CYCLE_1)
	s_and_not1_b32 exec_lo, exec_lo, s20
	s_cbranch_execz .LBB22_22
.LBB22_16:                              ;   Parent Loop BB22_13 Depth=1
                                        ; =>  This Inner Loop Header: Depth=2
	global_load_b64 v[32:33], v[28:29], off
	s_wait_loadcnt 0x0
	v_sub_nc_u64_e64 v[34:35], v[32:33], s[2:3]
	s_delay_alu instid0(VALU_DEP_1) | instskip(NEXT) | instid1(VALU_DEP_1)
	v_sub_nc_u64_e32 v[32:33], v[34:35], v[24:25]
	v_cmp_lt_i64_e64 s0, 31, v[32:33]
	v_cmp_gt_i64_e32 vcc_lo, 32, v[32:33]
	s_wait_xcnt 0x0
	s_and_saveexec_b32 s21, s0
	s_delay_alu instid0(SALU_CYCLE_1)
	s_xor_b32 s0, exec_lo, s21
	s_cbranch_execnz .LBB22_19
; %bb.17:                               ;   in Loop: Header=BB22_16 Depth=2
	s_and_not1_saveexec_b32 s0, s0
	s_cbranch_execnz .LBB22_20
.LBB22_18:                              ;   in Loop: Header=BB22_16 Depth=2
	s_or_b32 exec_lo, exec_lo, s0
	s_mov_b32 s0, -1
	s_and_saveexec_b32 s21, vcc_lo
	s_cbranch_execz .LBB22_15
	s_branch .LBB22_21
.LBB22_19:                              ;   in Loop: Header=BB22_16 Depth=2
	v_min_i64 v[26:27], v[34:35], v[26:27]
                                        ; implicit-def: $vgpr32_vgpr33
	s_and_not1_saveexec_b32 s0, s0
	s_cbranch_execz .LBB22_18
.LBB22_20:                              ;   in Loop: Header=BB22_16 Depth=2
	global_load_b128 v[48:51], v[30:31], off offset:-8
	v_add_nc_u32_e32 v8, v36, v32
	v_lshl_add_u32 v32, v32, 4, v37
	s_wait_loadcnt 0x0
	v_mul_f64_e64 v[52:53], v[50:51], -v[14:15]
	v_mul_f64_e32 v[54:55], v[10:11], v[50:51]
	s_delay_alu instid0(VALU_DEP_2) | instskip(NEXT) | instid1(VALU_DEP_2)
	v_fmac_f64_e32 v[52:53], v[10:11], v[48:49]
	v_fmac_f64_e32 v[54:55], v[14:15], v[48:49]
	ds_store_b8 v8, v46
	ds_store_b128 v32, v[52:55]
	s_wait_xcnt 0x0
	s_or_b32 exec_lo, exec_lo, s0
	s_mov_b32 s0, -1
	s_and_saveexec_b32 s21, vcc_lo
	s_cbranch_execz .LBB22_15
.LBB22_21:                              ;   in Loop: Header=BB22_16 Depth=2
	v_add_nc_u64_e32 v[20:21], 32, v[20:21]
	v_add_nc_u64_e32 v[28:29], 0x100, v[28:29]
	;; [unrolled: 1-line block ×3, first 2 shown]
	s_delay_alu instid0(VALU_DEP_3)
	v_cmp_ge_i64_e32 vcc_lo, v[20:21], v[6:7]
	s_or_not1_b32 s0, vcc_lo, exec_lo
	s_branch .LBB22_15
.LBB22_22:                              ;   in Loop: Header=BB22_13 Depth=1
	s_or_b32 exec_lo, exec_lo, s20
.LBB22_23:                              ;   in Loop: Header=BB22_13 Depth=1
	s_delay_alu instid0(SALU_CYCLE_1) | instskip(NEXT) | instid1(SALU_CYCLE_1)
	s_or_b32 exec_lo, exec_lo, s14
	s_mov_b32 s14, exec_lo
	s_wait_dscnt 0x0
	v_cmpx_lt_i64_e64 v[22:23], v[4:5]
	s_cbranch_execz .LBB22_33
; %bb.24:                               ;   in Loop: Header=BB22_13 Depth=1
	v_lshl_add_u64 v[28:29], v[22:23], 3, s[16:17]
	v_lshl_add_u64 v[30:31], v[22:23], 4, s[18:19]
	s_mov_b32 s20, 0
	s_branch .LBB22_26
.LBB22_25:                              ;   in Loop: Header=BB22_26 Depth=2
	s_or_b32 exec_lo, exec_lo, s21
	s_delay_alu instid0(SALU_CYCLE_1) | instskip(NEXT) | instid1(SALU_CYCLE_1)
	s_and_b32 s0, exec_lo, s0
	s_or_b32 s20, s0, s20
	s_delay_alu instid0(SALU_CYCLE_1)
	s_and_not1_b32 exec_lo, exec_lo, s20
	s_cbranch_execz .LBB22_32
.LBB22_26:                              ;   Parent Loop BB22_13 Depth=1
                                        ; =>  This Inner Loop Header: Depth=2
	global_load_b64 v[32:33], v[28:29], off
	s_wait_loadcnt 0x0
	v_sub_nc_u64_e64 v[34:35], v[32:33], s[4:5]
	s_delay_alu instid0(VALU_DEP_1) | instskip(NEXT) | instid1(VALU_DEP_1)
	v_sub_nc_u64_e32 v[32:33], v[34:35], v[24:25]
	v_cmp_lt_i64_e64 s0, 31, v[32:33]
	v_cmp_gt_i64_e32 vcc_lo, 32, v[32:33]
	s_wait_xcnt 0x0
	s_and_saveexec_b32 s21, s0
	s_delay_alu instid0(SALU_CYCLE_1)
	s_xor_b32 s0, exec_lo, s21
	s_cbranch_execnz .LBB22_29
; %bb.27:                               ;   in Loop: Header=BB22_26 Depth=2
	s_and_not1_saveexec_b32 s0, s0
	s_cbranch_execnz .LBB22_30
.LBB22_28:                              ;   in Loop: Header=BB22_26 Depth=2
	s_or_b32 exec_lo, exec_lo, s0
	s_mov_b32 s0, -1
	s_and_saveexec_b32 s21, vcc_lo
	s_cbranch_execz .LBB22_25
	s_branch .LBB22_31
.LBB22_29:                              ;   in Loop: Header=BB22_26 Depth=2
	v_min_i64 v[26:27], v[34:35], v[26:27]
                                        ; implicit-def: $vgpr32_vgpr33
	s_and_not1_saveexec_b32 s0, s0
	s_cbranch_execz .LBB22_28
.LBB22_30:                              ;   in Loop: Header=BB22_26 Depth=2
	global_load_b128 v[48:51], v[30:31], off offset:-8
	v_lshl_add_u32 v8, v32, 4, v37
	v_add_nc_u32_e32 v32, v36, v32
	ds_load_b128 v[52:55], v8
	s_wait_loadcnt_dscnt 0x0
	v_fmac_f64_e32 v[52:53], v[16:17], v[48:49]
	v_fmac_f64_e32 v[54:55], v[12:13], v[48:49]
	s_delay_alu instid0(VALU_DEP_2) | instskip(NEXT) | instid1(VALU_DEP_2)
	v_fma_f64 v[52:53], -v[12:13], v[50:51], v[52:53]
	v_fmac_f64_e32 v[54:55], v[16:17], v[50:51]
	ds_store_b8 v32, v46
	ds_store_b128 v8, v[52:55]
	s_wait_xcnt 0x0
	s_or_b32 exec_lo, exec_lo, s0
	s_mov_b32 s0, -1
	s_and_saveexec_b32 s21, vcc_lo
	s_cbranch_execz .LBB22_25
.LBB22_31:                              ;   in Loop: Header=BB22_26 Depth=2
	v_add_nc_u64_e32 v[22:23], 32, v[22:23]
	v_add_nc_u64_e32 v[28:29], 0x100, v[28:29]
	;; [unrolled: 1-line block ×3, first 2 shown]
	s_delay_alu instid0(VALU_DEP_3)
	v_cmp_ge_i64_e32 vcc_lo, v[22:23], v[4:5]
	s_or_not1_b32 s0, vcc_lo, exec_lo
	s_branch .LBB22_25
.LBB22_32:                              ;   in Loop: Header=BB22_13 Depth=1
	s_or_b32 exec_lo, exec_lo, s20
.LBB22_33:                              ;   in Loop: Header=BB22_13 Depth=1
	s_delay_alu instid0(SALU_CYCLE_1)
	s_or_b32 exec_lo, exec_lo, s14
	s_wait_dscnt 0x0
	ds_load_u8 v8, v45
	s_mov_b32 s14, exec_lo
	s_wait_dscnt 0x0
	v_and_b32_e32 v24, 1, v8
	v_cmp_ne_u16_e32 vcc_lo, 0, v8
	s_delay_alu instid0(VALU_DEP_2)
	v_cmpx_eq_u32_e32 1, v24
	s_cbranch_execz .LBB22_12
; %bb.34:                               ;   in Loop: Header=BB22_13 Depth=1
	v_and_b32_e32 v8, vcc_lo, v39
	ds_load_2addr_b64 v[28:31], v38 offset1:1
	v_lshl_add_u64 v[24:25], v[18:19], 4, s[8:9]
	v_bcnt_u32_b32 v8, v8, 0
	s_delay_alu instid0(VALU_DEP_1) | instskip(NEXT) | instid1(VALU_DEP_1)
	v_lshlrev_b32_e32 v8, 4, v8
	v_add_nc_u64_e32 v[24:25], v[24:25], v[8:9]
	s_wait_dscnt 0x0
	global_store_b128 v[24:25], v[28:31], off offset:-16
	s_branch .LBB22_12
.LBB22_35:
	s_endpgm
	.section	.rodata,"a",@progbits
	.p2align	6, 0x0
	.amdhsa_kernel _ZN9rocsparseL37csrgeam_fill_numeric_multipass_kernelILj256ELj32Ell21rocsparse_complex_numIdEEEvllNS_24const_host_device_scalarIT3_EEPKT1_PKT2_PKS4_S5_S8_SB_SD_S8_PS4_21rocsparse_index_base_SF_SF_bbb
		.amdhsa_group_segment_fixed_size 4352
		.amdhsa_private_segment_fixed_size 24
		.amdhsa_kernarg_size 128
		.amdhsa_user_sgpr_count 2
		.amdhsa_user_sgpr_dispatch_ptr 0
		.amdhsa_user_sgpr_queue_ptr 0
		.amdhsa_user_sgpr_kernarg_segment_ptr 1
		.amdhsa_user_sgpr_dispatch_id 0
		.amdhsa_user_sgpr_kernarg_preload_length 0
		.amdhsa_user_sgpr_kernarg_preload_offset 0
		.amdhsa_user_sgpr_private_segment_size 0
		.amdhsa_wavefront_size32 1
		.amdhsa_uses_dynamic_stack 0
		.amdhsa_enable_private_segment 1
		.amdhsa_system_sgpr_workgroup_id_x 1
		.amdhsa_system_sgpr_workgroup_id_y 0
		.amdhsa_system_sgpr_workgroup_id_z 0
		.amdhsa_system_sgpr_workgroup_info 0
		.amdhsa_system_vgpr_workitem_id 0
		.amdhsa_next_free_vgpr 56
		.amdhsa_next_free_sgpr 22
		.amdhsa_named_barrier_count 0
		.amdhsa_reserve_vcc 1
		.amdhsa_float_round_mode_32 0
		.amdhsa_float_round_mode_16_64 0
		.amdhsa_float_denorm_mode_32 3
		.amdhsa_float_denorm_mode_16_64 3
		.amdhsa_fp16_overflow 0
		.amdhsa_memory_ordered 1
		.amdhsa_forward_progress 1
		.amdhsa_inst_pref_size 15
		.amdhsa_round_robin_scheduling 0
		.amdhsa_exception_fp_ieee_invalid_op 0
		.amdhsa_exception_fp_denorm_src 0
		.amdhsa_exception_fp_ieee_div_zero 0
		.amdhsa_exception_fp_ieee_overflow 0
		.amdhsa_exception_fp_ieee_underflow 0
		.amdhsa_exception_fp_ieee_inexact 0
		.amdhsa_exception_int_div_zero 0
	.end_amdhsa_kernel
	.section	.text._ZN9rocsparseL37csrgeam_fill_numeric_multipass_kernelILj256ELj32Ell21rocsparse_complex_numIdEEEvllNS_24const_host_device_scalarIT3_EEPKT1_PKT2_PKS4_S5_S8_SB_SD_S8_PS4_21rocsparse_index_base_SF_SF_bbb,"axG",@progbits,_ZN9rocsparseL37csrgeam_fill_numeric_multipass_kernelILj256ELj32Ell21rocsparse_complex_numIdEEEvllNS_24const_host_device_scalarIT3_EEPKT1_PKT2_PKS4_S5_S8_SB_SD_S8_PS4_21rocsparse_index_base_SF_SF_bbb,comdat
.Lfunc_end22:
	.size	_ZN9rocsparseL37csrgeam_fill_numeric_multipass_kernelILj256ELj32Ell21rocsparse_complex_numIdEEEvllNS_24const_host_device_scalarIT3_EEPKT1_PKT2_PKS4_S5_S8_SB_SD_S8_PS4_21rocsparse_index_base_SF_SF_bbb, .Lfunc_end22-_ZN9rocsparseL37csrgeam_fill_numeric_multipass_kernelILj256ELj32Ell21rocsparse_complex_numIdEEEvllNS_24const_host_device_scalarIT3_EEPKT1_PKT2_PKS4_S5_S8_SB_SD_S8_PS4_21rocsparse_index_base_SF_SF_bbb
                                        ; -- End function
	.set _ZN9rocsparseL37csrgeam_fill_numeric_multipass_kernelILj256ELj32Ell21rocsparse_complex_numIdEEEvllNS_24const_host_device_scalarIT3_EEPKT1_PKT2_PKS4_S5_S8_SB_SD_S8_PS4_21rocsparse_index_base_SF_SF_bbb.num_vgpr, 56
	.set _ZN9rocsparseL37csrgeam_fill_numeric_multipass_kernelILj256ELj32Ell21rocsparse_complex_numIdEEEvllNS_24const_host_device_scalarIT3_EEPKT1_PKT2_PKS4_S5_S8_SB_SD_S8_PS4_21rocsparse_index_base_SF_SF_bbb.num_agpr, 0
	.set _ZN9rocsparseL37csrgeam_fill_numeric_multipass_kernelILj256ELj32Ell21rocsparse_complex_numIdEEEvllNS_24const_host_device_scalarIT3_EEPKT1_PKT2_PKS4_S5_S8_SB_SD_S8_PS4_21rocsparse_index_base_SF_SF_bbb.numbered_sgpr, 22
	.set _ZN9rocsparseL37csrgeam_fill_numeric_multipass_kernelILj256ELj32Ell21rocsparse_complex_numIdEEEvllNS_24const_host_device_scalarIT3_EEPKT1_PKT2_PKS4_S5_S8_SB_SD_S8_PS4_21rocsparse_index_base_SF_SF_bbb.num_named_barrier, 0
	.set _ZN9rocsparseL37csrgeam_fill_numeric_multipass_kernelILj256ELj32Ell21rocsparse_complex_numIdEEEvllNS_24const_host_device_scalarIT3_EEPKT1_PKT2_PKS4_S5_S8_SB_SD_S8_PS4_21rocsparse_index_base_SF_SF_bbb.private_seg_size, 24
	.set _ZN9rocsparseL37csrgeam_fill_numeric_multipass_kernelILj256ELj32Ell21rocsparse_complex_numIdEEEvllNS_24const_host_device_scalarIT3_EEPKT1_PKT2_PKS4_S5_S8_SB_SD_S8_PS4_21rocsparse_index_base_SF_SF_bbb.uses_vcc, 1
	.set _ZN9rocsparseL37csrgeam_fill_numeric_multipass_kernelILj256ELj32Ell21rocsparse_complex_numIdEEEvllNS_24const_host_device_scalarIT3_EEPKT1_PKT2_PKS4_S5_S8_SB_SD_S8_PS4_21rocsparse_index_base_SF_SF_bbb.uses_flat_scratch, 1
	.set _ZN9rocsparseL37csrgeam_fill_numeric_multipass_kernelILj256ELj32Ell21rocsparse_complex_numIdEEEvllNS_24const_host_device_scalarIT3_EEPKT1_PKT2_PKS4_S5_S8_SB_SD_S8_PS4_21rocsparse_index_base_SF_SF_bbb.has_dyn_sized_stack, 0
	.set _ZN9rocsparseL37csrgeam_fill_numeric_multipass_kernelILj256ELj32Ell21rocsparse_complex_numIdEEEvllNS_24const_host_device_scalarIT3_EEPKT1_PKT2_PKS4_S5_S8_SB_SD_S8_PS4_21rocsparse_index_base_SF_SF_bbb.has_recursion, 0
	.set _ZN9rocsparseL37csrgeam_fill_numeric_multipass_kernelILj256ELj32Ell21rocsparse_complex_numIdEEEvllNS_24const_host_device_scalarIT3_EEPKT1_PKT2_PKS4_S5_S8_SB_SD_S8_PS4_21rocsparse_index_base_SF_SF_bbb.has_indirect_call, 0
	.section	.AMDGPU.csdata,"",@progbits
; Kernel info:
; codeLenInByte = 1896
; TotalNumSgprs: 24
; NumVgprs: 56
; ScratchSize: 24
; MemoryBound: 0
; FloatMode: 240
; IeeeMode: 1
; LDSByteSize: 4352 bytes/workgroup (compile time only)
; SGPRBlocks: 0
; VGPRBlocks: 3
; NumSGPRsForWavesPerEU: 24
; NumVGPRsForWavesPerEU: 56
; NamedBarCnt: 0
; Occupancy: 16
; WaveLimiterHint : 1
; COMPUTE_PGM_RSRC2:SCRATCH_EN: 1
; COMPUTE_PGM_RSRC2:USER_SGPR: 2
; COMPUTE_PGM_RSRC2:TRAP_HANDLER: 0
; COMPUTE_PGM_RSRC2:TGID_X_EN: 1
; COMPUTE_PGM_RSRC2:TGID_Y_EN: 0
; COMPUTE_PGM_RSRC2:TGID_Z_EN: 0
; COMPUTE_PGM_RSRC2:TIDIG_COMP_CNT: 0
	.section	.text._ZN9rocsparseL37csrgeam_fill_numeric_multipass_kernelILj256ELj64Ell21rocsparse_complex_numIdEEEvllNS_24const_host_device_scalarIT3_EEPKT1_PKT2_PKS4_S5_S8_SB_SD_S8_PS4_21rocsparse_index_base_SF_SF_bbb,"axG",@progbits,_ZN9rocsparseL37csrgeam_fill_numeric_multipass_kernelILj256ELj64Ell21rocsparse_complex_numIdEEEvllNS_24const_host_device_scalarIT3_EEPKT1_PKT2_PKS4_S5_S8_SB_SD_S8_PS4_21rocsparse_index_base_SF_SF_bbb,comdat
	.globl	_ZN9rocsparseL37csrgeam_fill_numeric_multipass_kernelILj256ELj64Ell21rocsparse_complex_numIdEEEvllNS_24const_host_device_scalarIT3_EEPKT1_PKT2_PKS4_S5_S8_SB_SD_S8_PS4_21rocsparse_index_base_SF_SF_bbb ; -- Begin function _ZN9rocsparseL37csrgeam_fill_numeric_multipass_kernelILj256ELj64Ell21rocsparse_complex_numIdEEEvllNS_24const_host_device_scalarIT3_EEPKT1_PKT2_PKS4_S5_S8_SB_SD_S8_PS4_21rocsparse_index_base_SF_SF_bbb
	.p2align	8
	.type	_ZN9rocsparseL37csrgeam_fill_numeric_multipass_kernelILj256ELj64Ell21rocsparse_complex_numIdEEEvllNS_24const_host_device_scalarIT3_EEPKT1_PKT2_PKS4_S5_S8_SB_SD_S8_PS4_21rocsparse_index_base_SF_SF_bbb,@function
_ZN9rocsparseL37csrgeam_fill_numeric_multipass_kernelILj256ELj64Ell21rocsparse_complex_numIdEEEvllNS_24const_host_device_scalarIT3_EEPKT1_PKT2_PKS4_S5_S8_SB_SD_S8_PS4_21rocsparse_index_base_SF_SF_bbb: ; @_ZN9rocsparseL37csrgeam_fill_numeric_multipass_kernelILj256ELj64Ell21rocsparse_complex_numIdEEEvllNS_24const_host_device_scalarIT3_EEPKT1_PKT2_PKS4_S5_S8_SB_SD_S8_PS4_21rocsparse_index_base_SF_SF_bbb
; %bb.0:
	s_clause 0x3
	s_load_b32 s20, s[0:1], 0x7c
	s_load_b256 s[4:11], s[0:1], 0x0
	s_load_b128 s[16:19], s[0:1], 0x38
	s_load_b128 s[12:15], s[0:1], 0x70
	v_mov_b64_e32 v[12:13], 0
	v_mov_b64_e32 v[10:11], 0
	;; [unrolled: 1-line block ×3, first 2 shown]
	v_mbcnt_lo_u32_b32 v1, -1, 0
	s_wait_kmcnt 0x0
	s_bitcmp1_b32 s20, 16
	v_mov_b64_e32 v[2:3], s[8:9]
	s_cselect_b32 s2, -1, 0
	v_mov_b64_e32 v[4:5], s[16:17]
	s_xor_b32 s3, s2, -1
	s_bitcmp0_b32 s15, 0
	v_cndmask_b32_e64 v6, 0, 1, s3
	s_clause 0x1
	scratch_store_b64 off, v[2:3], off
	scratch_store_b64 off, v[4:5], off offset:8
	v_cmp_ne_u32_e32 vcc_lo, 1, v6
	s_cbranch_scc1 .LBB23_3
; %bb.1:
	s_wait_xcnt 0x1
	v_dual_mov_b32 v2, 0 :: v_dual_lshlrev_b32 v3, 20, v1
	v_mov_b64_e32 v[14:15], s[10:11]
	s_and_b32 vcc_lo, exec_lo, vcc_lo
	s_delay_alu instid0(VALU_DEP_2) | instskip(NEXT) | instid1(VALU_DEP_1)
	v_add_nc_u64_e32 v[2:3], src_flat_scratch_base_lo, v[2:3]
	v_cndmask_b32_e64 v3, s9, v3, s2
	s_delay_alu instid0(VALU_DEP_2)
	v_cndmask_b32_e64 v2, s8, v2, s2
	flat_load_b64 v[10:11], v[2:3]
	s_cbranch_vccnz .LBB23_3
; %bb.2:
	s_wait_xcnt 0x0
	v_mov_b32_e32 v2, 0
	flat_load_b64 v[14:15], v2, s[8:9] offset:8
.LBB23_3:
	v_mov_b64_e32 v[16:17], 0
	s_wait_xcnt 0x0
	s_bfe_u32 s8, s20, 0x10008
	s_delay_alu instid0(SALU_CYCLE_1)
	s_cmp_eq_u32 s8, 0
	s_cbranch_scc1 .LBB23_6
; %bb.4:
	v_dual_mov_b32 v2, 8 :: v_dual_lshlrev_b32 v3, 20, v1
	v_mov_b64_e32 v[12:13], s[18:19]
	s_and_not1_b32 vcc_lo, exec_lo, s3
	s_delay_alu instid0(VALU_DEP_2) | instskip(NEXT) | instid1(VALU_DEP_1)
	v_add_nc_u64_e32 v[2:3], src_flat_scratch_base_lo, v[2:3]
	v_cndmask_b32_e64 v3, s17, v3, s2
	s_delay_alu instid0(VALU_DEP_2)
	v_cndmask_b32_e64 v2, s16, v2, s2
	flat_load_b64 v[16:17], v[2:3]
	s_cbranch_vccnz .LBB23_6
; %bb.5:
	s_wait_xcnt 0x0
	v_mov_b32_e32 v2, 0
	flat_load_b64 v[12:13], v2, s[16:17] offset:8
.LBB23_6:
	s_bfe_u32 s2, ttmp6, 0x4000c
	s_and_b32 s3, ttmp6, 15
	s_add_co_i32 s2, s2, 1
	s_getreg_b32 s8, hwreg(HW_REG_IB_STS2, 6, 4)
	s_mul_i32 s2, ttmp9, s2
	s_wait_xcnt 0x0
	v_dual_mov_b32 v21, 0 :: v_dual_lshrrev_b32 v2, 6, v0
	s_add_co_i32 s3, s3, s2
	s_cmp_eq_u32 s8, 0
	s_cselect_b32 s2, ttmp9, s3
	s_mov_b32 s3, 0
	s_lshl_b32 s2, s2, 2
	s_delay_alu instid0(SALU_CYCLE_1) | instskip(SKIP_1) | instid1(VALU_DEP_1)
	v_and_or_b32 v20, 0x3fffffc, s2, v2
	s_mov_b32 s2, exec_lo
	v_cmpx_gt_i64_e64 s[4:5], v[20:21]
	s_cbranch_execz .LBB23_35
; %bb.7:
	s_clause 0x2
	s_load_b128 s[8:11], s[0:1], 0x20
	s_load_b64 s[4:5], s[0:1], 0x48
	s_load_b64 s[16:17], s[0:1], 0x60
	v_lshlrev_b32_e32 v21, 3, v20
	s_mov_b32 s2, s12
	v_mov_b64_e32 v[22:23], s[6:7]
	s_wait_kmcnt 0x0
	s_clause 0x1
	global_load_b128 v[6:9], v21, s[8:9]
	global_load_b128 v[2:5], v21, s[4:5]
	global_load_b64 v[18:19], v20, s[16:17] scale_offset
	s_wait_xcnt 0x1
	s_mov_b32 s4, exec_lo
	s_wait_loadcnt 0x2
	s_wait_xcnt 0x0
	v_sub_nc_u64_e64 v[20:21], v[6:7], s[2:3]
	v_cmpx_lt_i64_e64 v[6:7], v[8:9]
	s_cbranch_execz .LBB23_9
; %bb.8:
	s_delay_alu instid0(VALU_DEP_2)
	v_lshl_add_u64 v[6:7], v[20:21], 3, s[10:11]
	global_load_b64 v[6:7], v[6:7], off
	s_wait_loadcnt 0x0
	v_sub_nc_u64_e64 v[22:23], v[6:7], s[2:3]
.LBB23_9:
	s_wait_xcnt 0x0
	s_or_b32 exec_lo, exec_lo, s4
	s_clause 0x1
	s_load_b128 s[16:19], s[0:1], 0x50
	s_load_b64 s[20:21], s[0:1], 0x30
	s_mov_b32 s15, 0
	s_mov_b32 s4, s13
	;; [unrolled: 1-line block ×3, first 2 shown]
	s_wait_loadcnt 0x1
	v_cmp_lt_i64_e32 vcc_lo, v[2:3], v[4:5]
	v_sub_nc_u64_e64 v[24:25], v[2:3], s[4:5]
	v_mov_b64_e32 v[2:3], s[6:7]
	s_and_saveexec_b32 s8, vcc_lo
	s_cbranch_execz .LBB23_11
; %bb.10:
	s_wait_kmcnt 0x0
	s_delay_alu instid0(VALU_DEP_2)
	v_lshl_add_u64 v[2:3], v[24:25], 3, s[16:17]
	global_load_b64 v[2:3], v[2:3], off
	s_wait_loadcnt 0x0
	v_sub_nc_u64_e64 v[2:3], v[2:3], s[4:5]
.LBB23_11:
	s_or_b32 exec_lo, exec_lo, s8
	v_sub_nc_u64_e64 v[6:7], v[8:9], s[2:3]
	v_dual_mov_b32 v9, 0 :: v_dual_bitop2_b32 v28, 32, v1 bitop3:0x54
	v_and_b32_e32 v26, 0xc0, v0
	v_and_b32_e32 v8, 63, v0
	v_bitop3_b32 v0, v0, 63, v0 bitop3:0xc
	s_load_b64 s[8:9], s[0:1], 0x68
	v_cmp_gt_i32_e32 vcc_lo, 32, v28
	v_or_b32_e32 v38, 0x1000, v26
	v_lshlrev_b32_e32 v39, 4, v26
	v_min_i64 v[26:27], v[2:3], v[22:23]
	v_dual_cndmask_b32 v2, v1, v28, vcc_lo :: v_dual_bitop2_b32 v3, 16, v1 bitop3:0x14
	v_add_nc_u64_e32 v[22:23], v[24:25], v[8:9]
	v_lshrrev_b64 v[24:25], v0, -1
	v_xor_b32_e32 v0, 8, v1
	s_delay_alu instid0(VALU_DEP_4)
	v_cmp_gt_i32_e32 vcc_lo, 32, v3
	v_lshlrev_b32_e32 v25, 2, v2
	v_sub_nc_u64_e64 v[4:5], v[4:5], s[4:5]
	s_wait_loadcnt 0x0
	v_sub_nc_u64_e64 v[18:19], v[18:19], s[14:15]
	v_add_nc_u64_e32 v[20:21], v[20:21], v[8:9]
	v_dual_cndmask_b32 v2, v1, v3, vcc_lo :: v_dual_bitop2_b32 v3, 4, v1 bitop3:0x14
	v_cmp_gt_i32_e32 vcc_lo, 32, v0
	v_xor_b32_e32 v28, 2, v1
	v_lshl_or_b32 v40, v8, 4, v39
	v_mov_b32_e32 v47, 1
	s_wait_kmcnt 0x0
	s_add_nc_u64 s[12:13], s[20:21], 8
	v_cndmask_b32_e32 v0, v1, v0, vcc_lo
	v_cmp_gt_i32_e32 vcc_lo, 32, v3
	v_dual_lshlrev_b32 v41, 2, v2 :: v_dual_bitop2_b32 v29, 1, v1 bitop3:0x14
	s_delay_alu instid0(VALU_DEP_3)
	v_dual_mov_b32 v2, v9 :: v_dual_lshlrev_b32 v42, 2, v0
	v_cndmask_b32_e32 v3, v1, v3, vcc_lo
	v_cmp_gt_i32_e32 vcc_lo, 32, v28
	v_mov_b32_e32 v0, v9
	s_add_nc_u64 s[18:19], s[18:19], 8
	s_mov_b32 s1, 0
	v_add_nc_u32_e32 v46, v38, v8
	v_cndmask_b32_e32 v28, v1, v28, vcc_lo
	v_cmp_gt_i32_e32 vcc_lo, 32, v29
	v_dual_cndmask_b32 v1, v1, v29, vcc_lo :: v_dual_lshlrev_b32 v43, 2, v3
	s_delay_alu instid0(VALU_DEP_3) | instskip(NEXT) | instid1(VALU_DEP_2)
	v_dual_mov_b32 v3, v9 :: v_dual_lshlrev_b32 v44, 2, v28
	v_dual_lshlrev_b32 v45, 2, v1 :: v_dual_mov_b32 v1, v9
	s_branch .LBB23_13
.LBB23_12:                              ;   in Loop: Header=BB23_13 Depth=1
	s_wait_xcnt 0x0
	s_or_b32 exec_lo, exec_lo, s14
	ds_bpermute_b32 v26, v25, v28
	ds_bpermute_b32 v27, v25, v29
	s_bcnt1_i32_b32 s14, vcc_lo
	s_delay_alu instid0(SALU_CYCLE_1)
	v_add_nc_u64_e32 v[18:19], s[14:15], v[18:19]
	s_wait_dscnt 0x0
	v_min_i64 v[26:27], v[26:27], v[28:29]
	ds_bpermute_b32 v28, v41, v26
	ds_bpermute_b32 v29, v41, v27
	s_wait_dscnt 0x0
	v_min_i64 v[26:27], v[28:29], v[26:27]
	ds_bpermute_b32 v28, v42, v26
	ds_bpermute_b32 v29, v42, v27
	;; [unrolled: 4-line block ×5, first 2 shown]
	s_wait_dscnt 0x0
	v_min_i64 v[26:27], v[28:29], v[26:27]
	s_delay_alu instid0(VALU_DEP_1) | instskip(SKIP_1) | instid1(SALU_CYCLE_1)
	v_cmp_le_i64_e64 s0, s[6:7], v[26:27]
	s_or_b32 s1, s0, s1
	s_and_not1_b32 exec_lo, exec_lo, s1
	s_cbranch_execz .LBB23_35
.LBB23_13:                              ; =>This Loop Header: Depth=1
                                        ;     Child Loop BB23_16 Depth 2
                                        ;     Child Loop BB23_26 Depth 2
	v_mov_b64_e32 v[28:29], s[6:7]
	s_mov_b32 s14, exec_lo
	ds_store_b8 v46, v9
	ds_store_b128 v40, v[0:3]
	s_wait_storecnt_dscnt 0x0
	v_cmpx_lt_i64_e64 v[20:21], v[6:7]
	s_cbranch_execz .LBB23_23
; %bb.14:                               ;   in Loop: Header=BB23_13 Depth=1
	v_mov_b64_e32 v[28:29], s[6:7]
	v_lshl_add_u64 v[30:31], v[20:21], 3, s[10:11]
	v_lshl_add_u64 v[32:33], v[20:21], 4, s[12:13]
	s_mov_b32 s20, 0
	s_branch .LBB23_16
.LBB23_15:                              ;   in Loop: Header=BB23_16 Depth=2
	s_or_b32 exec_lo, exec_lo, s21
	s_delay_alu instid0(SALU_CYCLE_1) | instskip(NEXT) | instid1(SALU_CYCLE_1)
	s_and_b32 s0, exec_lo, s0
	s_or_b32 s20, s0, s20
	s_delay_alu instid0(SALU_CYCLE_1)
	s_and_not1_b32 exec_lo, exec_lo, s20
	s_cbranch_execz .LBB23_22
.LBB23_16:                              ;   Parent Loop BB23_13 Depth=1
                                        ; =>  This Inner Loop Header: Depth=2
	global_load_b64 v[34:35], v[30:31], off
	s_wait_loadcnt 0x0
	v_sub_nc_u64_e64 v[36:37], v[34:35], s[2:3]
	s_delay_alu instid0(VALU_DEP_1) | instskip(NEXT) | instid1(VALU_DEP_1)
	v_sub_nc_u64_e32 v[34:35], v[36:37], v[26:27]
	v_cmp_lt_i64_e64 s0, 63, v[34:35]
	v_cmp_gt_i64_e32 vcc_lo, 64, v[34:35]
	s_wait_xcnt 0x0
	s_and_saveexec_b32 s21, s0
	s_delay_alu instid0(SALU_CYCLE_1)
	s_xor_b32 s0, exec_lo, s21
	s_cbranch_execnz .LBB23_19
; %bb.17:                               ;   in Loop: Header=BB23_16 Depth=2
	s_and_not1_saveexec_b32 s0, s0
	s_cbranch_execnz .LBB23_20
.LBB23_18:                              ;   in Loop: Header=BB23_16 Depth=2
	s_or_b32 exec_lo, exec_lo, s0
	s_mov_b32 s0, -1
	s_and_saveexec_b32 s21, vcc_lo
	s_cbranch_execz .LBB23_15
	s_branch .LBB23_21
.LBB23_19:                              ;   in Loop: Header=BB23_16 Depth=2
	v_min_i64 v[28:29], v[36:37], v[28:29]
                                        ; implicit-def: $vgpr34_vgpr35
	s_and_not1_saveexec_b32 s0, s0
	s_cbranch_execz .LBB23_18
.LBB23_20:                              ;   in Loop: Header=BB23_16 Depth=2
	global_load_b128 v[48:51], v[32:33], off offset:-8
	v_add_nc_u32_e32 v8, v38, v34
	v_lshl_add_u32 v34, v34, 4, v39
	s_wait_loadcnt 0x0
	v_mul_f64_e64 v[52:53], v[50:51], -v[14:15]
	v_mul_f64_e32 v[54:55], v[10:11], v[50:51]
	s_delay_alu instid0(VALU_DEP_2) | instskip(NEXT) | instid1(VALU_DEP_2)
	v_fmac_f64_e32 v[52:53], v[10:11], v[48:49]
	v_fmac_f64_e32 v[54:55], v[14:15], v[48:49]
	ds_store_b8 v8, v47
	ds_store_b128 v34, v[52:55]
	s_wait_xcnt 0x0
	s_or_b32 exec_lo, exec_lo, s0
	s_mov_b32 s0, -1
	s_and_saveexec_b32 s21, vcc_lo
	s_cbranch_execz .LBB23_15
.LBB23_21:                              ;   in Loop: Header=BB23_16 Depth=2
	v_add_nc_u64_e32 v[20:21], 64, v[20:21]
	v_add_nc_u64_e32 v[30:31], 0x200, v[30:31]
	;; [unrolled: 1-line block ×3, first 2 shown]
	s_delay_alu instid0(VALU_DEP_3)
	v_cmp_ge_i64_e32 vcc_lo, v[20:21], v[6:7]
	s_or_not1_b32 s0, vcc_lo, exec_lo
	s_branch .LBB23_15
.LBB23_22:                              ;   in Loop: Header=BB23_13 Depth=1
	s_or_b32 exec_lo, exec_lo, s20
.LBB23_23:                              ;   in Loop: Header=BB23_13 Depth=1
	s_delay_alu instid0(SALU_CYCLE_1) | instskip(NEXT) | instid1(SALU_CYCLE_1)
	s_or_b32 exec_lo, exec_lo, s14
	s_mov_b32 s14, exec_lo
	s_wait_dscnt 0x0
	v_cmpx_lt_i64_e64 v[22:23], v[4:5]
	s_cbranch_execz .LBB23_33
; %bb.24:                               ;   in Loop: Header=BB23_13 Depth=1
	v_lshl_add_u64 v[30:31], v[22:23], 3, s[16:17]
	v_lshl_add_u64 v[32:33], v[22:23], 4, s[18:19]
	s_mov_b32 s20, 0
	s_branch .LBB23_26
.LBB23_25:                              ;   in Loop: Header=BB23_26 Depth=2
	s_or_b32 exec_lo, exec_lo, s21
	s_delay_alu instid0(SALU_CYCLE_1) | instskip(NEXT) | instid1(SALU_CYCLE_1)
	s_and_b32 s0, exec_lo, s0
	s_or_b32 s20, s0, s20
	s_delay_alu instid0(SALU_CYCLE_1)
	s_and_not1_b32 exec_lo, exec_lo, s20
	s_cbranch_execz .LBB23_32
.LBB23_26:                              ;   Parent Loop BB23_13 Depth=1
                                        ; =>  This Inner Loop Header: Depth=2
	global_load_b64 v[34:35], v[30:31], off
	s_wait_loadcnt 0x0
	v_sub_nc_u64_e64 v[36:37], v[34:35], s[4:5]
	s_delay_alu instid0(VALU_DEP_1) | instskip(NEXT) | instid1(VALU_DEP_1)
	v_sub_nc_u64_e32 v[34:35], v[36:37], v[26:27]
	v_cmp_lt_i64_e64 s0, 63, v[34:35]
	v_cmp_gt_i64_e32 vcc_lo, 64, v[34:35]
	s_wait_xcnt 0x0
	s_and_saveexec_b32 s21, s0
	s_delay_alu instid0(SALU_CYCLE_1)
	s_xor_b32 s0, exec_lo, s21
	s_cbranch_execnz .LBB23_29
; %bb.27:                               ;   in Loop: Header=BB23_26 Depth=2
	s_and_not1_saveexec_b32 s0, s0
	s_cbranch_execnz .LBB23_30
.LBB23_28:                              ;   in Loop: Header=BB23_26 Depth=2
	s_or_b32 exec_lo, exec_lo, s0
	s_mov_b32 s0, -1
	s_and_saveexec_b32 s21, vcc_lo
	s_cbranch_execz .LBB23_25
	s_branch .LBB23_31
.LBB23_29:                              ;   in Loop: Header=BB23_26 Depth=2
	v_min_i64 v[28:29], v[36:37], v[28:29]
                                        ; implicit-def: $vgpr34_vgpr35
	s_and_not1_saveexec_b32 s0, s0
	s_cbranch_execz .LBB23_28
.LBB23_30:                              ;   in Loop: Header=BB23_26 Depth=2
	global_load_b128 v[48:51], v[32:33], off offset:-8
	v_lshl_add_u32 v8, v34, 4, v39
	v_add_nc_u32_e32 v34, v38, v34
	ds_load_b128 v[52:55], v8
	s_wait_loadcnt_dscnt 0x0
	v_fmac_f64_e32 v[52:53], v[16:17], v[48:49]
	v_fmac_f64_e32 v[54:55], v[12:13], v[48:49]
	s_delay_alu instid0(VALU_DEP_2) | instskip(NEXT) | instid1(VALU_DEP_2)
	v_fma_f64 v[52:53], -v[12:13], v[50:51], v[52:53]
	v_fmac_f64_e32 v[54:55], v[16:17], v[50:51]
	ds_store_b8 v34, v47
	ds_store_b128 v8, v[52:55]
	s_wait_xcnt 0x0
	s_or_b32 exec_lo, exec_lo, s0
	s_mov_b32 s0, -1
	s_and_saveexec_b32 s21, vcc_lo
	s_cbranch_execz .LBB23_25
.LBB23_31:                              ;   in Loop: Header=BB23_26 Depth=2
	v_add_nc_u64_e32 v[22:23], 64, v[22:23]
	v_add_nc_u64_e32 v[30:31], 0x200, v[30:31]
	;; [unrolled: 1-line block ×3, first 2 shown]
	s_delay_alu instid0(VALU_DEP_3)
	v_cmp_ge_i64_e32 vcc_lo, v[22:23], v[4:5]
	s_or_not1_b32 s0, vcc_lo, exec_lo
	s_branch .LBB23_25
.LBB23_32:                              ;   in Loop: Header=BB23_13 Depth=1
	s_or_b32 exec_lo, exec_lo, s20
.LBB23_33:                              ;   in Loop: Header=BB23_13 Depth=1
	s_delay_alu instid0(SALU_CYCLE_1)
	s_or_b32 exec_lo, exec_lo, s14
	s_wait_dscnt 0x0
	ds_load_u8 v8, v46
	s_mov_b32 s14, exec_lo
	s_wait_dscnt 0x0
	v_and_b32_e32 v26, 1, v8
	v_cmp_ne_u16_e32 vcc_lo, 0, v8
	s_delay_alu instid0(VALU_DEP_2)
	v_cmpx_eq_u32_e32 1, v26
	s_cbranch_execz .LBB23_12
; %bb.34:                               ;   in Loop: Header=BB23_13 Depth=1
	v_and_b32_e32 v8, vcc_lo, v24
	ds_load_2addr_b64 v[30:33], v40 offset1:1
	v_lshl_add_u64 v[26:27], v[18:19], 4, s[8:9]
	v_bcnt_u32_b32 v8, v8, 0
	s_delay_alu instid0(VALU_DEP_1) | instskip(NEXT) | instid1(VALU_DEP_1)
	v_lshlrev_b32_e32 v8, 4, v8
	v_add_nc_u64_e32 v[26:27], v[26:27], v[8:9]
	s_wait_dscnt 0x0
	global_store_b128 v[26:27], v[30:33], off offset:-16
	s_branch .LBB23_12
.LBB23_35:
	s_endpgm
	.section	.rodata,"a",@progbits
	.p2align	6, 0x0
	.amdhsa_kernel _ZN9rocsparseL37csrgeam_fill_numeric_multipass_kernelILj256ELj64Ell21rocsparse_complex_numIdEEEvllNS_24const_host_device_scalarIT3_EEPKT1_PKT2_PKS4_S5_S8_SB_SD_S8_PS4_21rocsparse_index_base_SF_SF_bbb
		.amdhsa_group_segment_fixed_size 4352
		.amdhsa_private_segment_fixed_size 24
		.amdhsa_kernarg_size 128
		.amdhsa_user_sgpr_count 2
		.amdhsa_user_sgpr_dispatch_ptr 0
		.amdhsa_user_sgpr_queue_ptr 0
		.amdhsa_user_sgpr_kernarg_segment_ptr 1
		.amdhsa_user_sgpr_dispatch_id 0
		.amdhsa_user_sgpr_kernarg_preload_length 0
		.amdhsa_user_sgpr_kernarg_preload_offset 0
		.amdhsa_user_sgpr_private_segment_size 0
		.amdhsa_wavefront_size32 1
		.amdhsa_uses_dynamic_stack 0
		.amdhsa_enable_private_segment 1
		.amdhsa_system_sgpr_workgroup_id_x 1
		.amdhsa_system_sgpr_workgroup_id_y 0
		.amdhsa_system_sgpr_workgroup_id_z 0
		.amdhsa_system_sgpr_workgroup_info 0
		.amdhsa_system_vgpr_workitem_id 0
		.amdhsa_next_free_vgpr 56
		.amdhsa_next_free_sgpr 22
		.amdhsa_named_barrier_count 0
		.amdhsa_reserve_vcc 1
		.amdhsa_float_round_mode_32 0
		.amdhsa_float_round_mode_16_64 0
		.amdhsa_float_denorm_mode_32 3
		.amdhsa_float_denorm_mode_16_64 3
		.amdhsa_fp16_overflow 0
		.amdhsa_memory_ordered 1
		.amdhsa_forward_progress 1
		.amdhsa_inst_pref_size 16
		.amdhsa_round_robin_scheduling 0
		.amdhsa_exception_fp_ieee_invalid_op 0
		.amdhsa_exception_fp_denorm_src 0
		.amdhsa_exception_fp_ieee_div_zero 0
		.amdhsa_exception_fp_ieee_overflow 0
		.amdhsa_exception_fp_ieee_underflow 0
		.amdhsa_exception_fp_ieee_inexact 0
		.amdhsa_exception_int_div_zero 0
	.end_amdhsa_kernel
	.section	.text._ZN9rocsparseL37csrgeam_fill_numeric_multipass_kernelILj256ELj64Ell21rocsparse_complex_numIdEEEvllNS_24const_host_device_scalarIT3_EEPKT1_PKT2_PKS4_S5_S8_SB_SD_S8_PS4_21rocsparse_index_base_SF_SF_bbb,"axG",@progbits,_ZN9rocsparseL37csrgeam_fill_numeric_multipass_kernelILj256ELj64Ell21rocsparse_complex_numIdEEEvllNS_24const_host_device_scalarIT3_EEPKT1_PKT2_PKS4_S5_S8_SB_SD_S8_PS4_21rocsparse_index_base_SF_SF_bbb,comdat
.Lfunc_end23:
	.size	_ZN9rocsparseL37csrgeam_fill_numeric_multipass_kernelILj256ELj64Ell21rocsparse_complex_numIdEEEvllNS_24const_host_device_scalarIT3_EEPKT1_PKT2_PKS4_S5_S8_SB_SD_S8_PS4_21rocsparse_index_base_SF_SF_bbb, .Lfunc_end23-_ZN9rocsparseL37csrgeam_fill_numeric_multipass_kernelILj256ELj64Ell21rocsparse_complex_numIdEEEvllNS_24const_host_device_scalarIT3_EEPKT1_PKT2_PKS4_S5_S8_SB_SD_S8_PS4_21rocsparse_index_base_SF_SF_bbb
                                        ; -- End function
	.set _ZN9rocsparseL37csrgeam_fill_numeric_multipass_kernelILj256ELj64Ell21rocsparse_complex_numIdEEEvllNS_24const_host_device_scalarIT3_EEPKT1_PKT2_PKS4_S5_S8_SB_SD_S8_PS4_21rocsparse_index_base_SF_SF_bbb.num_vgpr, 56
	.set _ZN9rocsparseL37csrgeam_fill_numeric_multipass_kernelILj256ELj64Ell21rocsparse_complex_numIdEEEvllNS_24const_host_device_scalarIT3_EEPKT1_PKT2_PKS4_S5_S8_SB_SD_S8_PS4_21rocsparse_index_base_SF_SF_bbb.num_agpr, 0
	.set _ZN9rocsparseL37csrgeam_fill_numeric_multipass_kernelILj256ELj64Ell21rocsparse_complex_numIdEEEvllNS_24const_host_device_scalarIT3_EEPKT1_PKT2_PKS4_S5_S8_SB_SD_S8_PS4_21rocsparse_index_base_SF_SF_bbb.numbered_sgpr, 22
	.set _ZN9rocsparseL37csrgeam_fill_numeric_multipass_kernelILj256ELj64Ell21rocsparse_complex_numIdEEEvllNS_24const_host_device_scalarIT3_EEPKT1_PKT2_PKS4_S5_S8_SB_SD_S8_PS4_21rocsparse_index_base_SF_SF_bbb.num_named_barrier, 0
	.set _ZN9rocsparseL37csrgeam_fill_numeric_multipass_kernelILj256ELj64Ell21rocsparse_complex_numIdEEEvllNS_24const_host_device_scalarIT3_EEPKT1_PKT2_PKS4_S5_S8_SB_SD_S8_PS4_21rocsparse_index_base_SF_SF_bbb.private_seg_size, 24
	.set _ZN9rocsparseL37csrgeam_fill_numeric_multipass_kernelILj256ELj64Ell21rocsparse_complex_numIdEEEvllNS_24const_host_device_scalarIT3_EEPKT1_PKT2_PKS4_S5_S8_SB_SD_S8_PS4_21rocsparse_index_base_SF_SF_bbb.uses_vcc, 1
	.set _ZN9rocsparseL37csrgeam_fill_numeric_multipass_kernelILj256ELj64Ell21rocsparse_complex_numIdEEEvllNS_24const_host_device_scalarIT3_EEPKT1_PKT2_PKS4_S5_S8_SB_SD_S8_PS4_21rocsparse_index_base_SF_SF_bbb.uses_flat_scratch, 1
	.set _ZN9rocsparseL37csrgeam_fill_numeric_multipass_kernelILj256ELj64Ell21rocsparse_complex_numIdEEEvllNS_24const_host_device_scalarIT3_EEPKT1_PKT2_PKS4_S5_S8_SB_SD_S8_PS4_21rocsparse_index_base_SF_SF_bbb.has_dyn_sized_stack, 0
	.set _ZN9rocsparseL37csrgeam_fill_numeric_multipass_kernelILj256ELj64Ell21rocsparse_complex_numIdEEEvllNS_24const_host_device_scalarIT3_EEPKT1_PKT2_PKS4_S5_S8_SB_SD_S8_PS4_21rocsparse_index_base_SF_SF_bbb.has_recursion, 0
	.set _ZN9rocsparseL37csrgeam_fill_numeric_multipass_kernelILj256ELj64Ell21rocsparse_complex_numIdEEEvllNS_24const_host_device_scalarIT3_EEPKT1_PKT2_PKS4_S5_S8_SB_SD_S8_PS4_21rocsparse_index_base_SF_SF_bbb.has_indirect_call, 0
	.section	.AMDGPU.csdata,"",@progbits
; Kernel info:
; codeLenInByte = 1940
; TotalNumSgprs: 24
; NumVgprs: 56
; ScratchSize: 24
; MemoryBound: 0
; FloatMode: 240
; IeeeMode: 1
; LDSByteSize: 4352 bytes/workgroup (compile time only)
; SGPRBlocks: 0
; VGPRBlocks: 3
; NumSGPRsForWavesPerEU: 24
; NumVGPRsForWavesPerEU: 56
; NamedBarCnt: 0
; Occupancy: 16
; WaveLimiterHint : 1
; COMPUTE_PGM_RSRC2:SCRATCH_EN: 1
; COMPUTE_PGM_RSRC2:USER_SGPR: 2
; COMPUTE_PGM_RSRC2:TRAP_HANDLER: 0
; COMPUTE_PGM_RSRC2:TGID_X_EN: 1
; COMPUTE_PGM_RSRC2:TGID_Y_EN: 0
; COMPUTE_PGM_RSRC2:TGID_Z_EN: 0
; COMPUTE_PGM_RSRC2:TIDIG_COMP_CNT: 0
	.section	.AMDGPU.gpr_maximums,"",@progbits
	.set amdgpu.max_num_vgpr, 0
	.set amdgpu.max_num_agpr, 0
	.set amdgpu.max_num_sgpr, 0
	.section	.AMDGPU.csdata,"",@progbits
	.type	__hip_cuid_f7fd8afd518df98c,@object ; @__hip_cuid_f7fd8afd518df98c
	.section	.bss,"aw",@nobits
	.globl	__hip_cuid_f7fd8afd518df98c
__hip_cuid_f7fd8afd518df98c:
	.byte	0                               ; 0x0
	.size	__hip_cuid_f7fd8afd518df98c, 1

	.ident	"AMD clang version 22.0.0git (https://github.com/RadeonOpenCompute/llvm-project roc-7.2.4 26084 f58b06dce1f9c15707c5f808fd002e18c2accf7e)"
	.section	".note.GNU-stack","",@progbits
	.addrsig
	.addrsig_sym __hip_cuid_f7fd8afd518df98c
	.amdgpu_metadata
---
amdhsa.kernels:
  - .args:
      - .offset:         0
        .size:           8
        .value_kind:     by_value
      - .offset:         8
        .size:           8
        .value_kind:     by_value
      - .offset:         16
        .size:           8
        .value_kind:     by_value
      - .actual_access:  read_only
        .address_space:  global
        .offset:         24
        .size:           8
        .value_kind:     global_buffer
      - .actual_access:  read_only
        .address_space:  global
        .offset:         32
        .size:           8
        .value_kind:     global_buffer
      - .actual_access:  read_only
        .address_space:  global
        .offset:         40
        .size:           8
        .value_kind:     global_buffer
      - .offset:         48
        .size:           8
        .value_kind:     by_value
      - .actual_access:  read_only
        .address_space:  global
        .offset:         56
        .size:           8
        .value_kind:     global_buffer
      - .actual_access:  read_only
        .address_space:  global
        .offset:         64
        .size:           8
        .value_kind:     global_buffer
      - .actual_access:  read_only
        .address_space:  global
        .offset:         72
        .size:           8
        .value_kind:     global_buffer
      - .actual_access:  read_only
        .address_space:  global
        .offset:         80
        .size:           8
        .value_kind:     global_buffer
      - .actual_access:  write_only
        .address_space:  global
        .offset:         88
        .size:           8
        .value_kind:     global_buffer
      - .offset:         96
        .size:           4
        .value_kind:     by_value
      - .offset:         100
        .size:           4
        .value_kind:     by_value
      - .offset:         104
        .size:           4
        .value_kind:     by_value
      - .offset:         108
        .size:           1
        .value_kind:     by_value
      - .offset:         109
        .size:           1
        .value_kind:     by_value
      - .offset:         110
        .size:           1
        .value_kind:     by_value
    .group_segment_fixed_size: 1280
    .kernarg_segment_align: 8
    .kernarg_segment_size: 112
    .language:       OpenCL C
    .language_version:
      - 2
      - 0
    .max_flat_workgroup_size: 256
    .name:           _ZN9rocsparseL37csrgeam_fill_numeric_multipass_kernelILj256ELj32EiifEEvllNS_24const_host_device_scalarIT3_EEPKT1_PKT2_PKS2_S3_S6_S9_SB_S6_PS2_21rocsparse_index_base_SD_SD_bbb
    .private_segment_fixed_size: 0
    .sgpr_count:     23
    .sgpr_spill_count: 0
    .symbol:         _ZN9rocsparseL37csrgeam_fill_numeric_multipass_kernelILj256ELj32EiifEEvllNS_24const_host_device_scalarIT3_EEPKT1_PKT2_PKS2_S3_S6_S9_SB_S6_PS2_21rocsparse_index_base_SD_SD_bbb.kd
    .uniform_work_group_size: 1
    .uses_dynamic_stack: false
    .vgpr_count:     24
    .vgpr_spill_count: 0
    .wavefront_size: 32
  - .args:
      - .offset:         0
        .size:           8
        .value_kind:     by_value
      - .offset:         8
        .size:           8
        .value_kind:     by_value
      - .offset:         16
        .size:           8
        .value_kind:     by_value
      - .actual_access:  read_only
        .address_space:  global
        .offset:         24
        .size:           8
        .value_kind:     global_buffer
      - .actual_access:  read_only
        .address_space:  global
        .offset:         32
        .size:           8
        .value_kind:     global_buffer
      - .actual_access:  read_only
        .address_space:  global
        .offset:         40
        .size:           8
        .value_kind:     global_buffer
      - .offset:         48
        .size:           8
        .value_kind:     by_value
      - .actual_access:  read_only
        .address_space:  global
        .offset:         56
        .size:           8
        .value_kind:     global_buffer
      - .actual_access:  read_only
        .address_space:  global
        .offset:         64
        .size:           8
        .value_kind:     global_buffer
      - .actual_access:  read_only
        .address_space:  global
        .offset:         72
        .size:           8
        .value_kind:     global_buffer
      - .actual_access:  read_only
        .address_space:  global
        .offset:         80
        .size:           8
        .value_kind:     global_buffer
      - .actual_access:  write_only
        .address_space:  global
        .offset:         88
        .size:           8
        .value_kind:     global_buffer
      - .offset:         96
        .size:           4
        .value_kind:     by_value
      - .offset:         100
        .size:           4
        .value_kind:     by_value
      - .offset:         104
        .size:           4
        .value_kind:     by_value
      - .offset:         108
        .size:           1
        .value_kind:     by_value
      - .offset:         109
        .size:           1
        .value_kind:     by_value
      - .offset:         110
        .size:           1
        .value_kind:     by_value
    .group_segment_fixed_size: 1280
    .kernarg_segment_align: 8
    .kernarg_segment_size: 112
    .language:       OpenCL C
    .language_version:
      - 2
      - 0
    .max_flat_workgroup_size: 256
    .name:           _ZN9rocsparseL37csrgeam_fill_numeric_multipass_kernelILj256ELj64EiifEEvllNS_24const_host_device_scalarIT3_EEPKT1_PKT2_PKS2_S3_S6_S9_SB_S6_PS2_21rocsparse_index_base_SD_SD_bbb
    .private_segment_fixed_size: 0
    .sgpr_count:     23
    .sgpr_spill_count: 0
    .symbol:         _ZN9rocsparseL37csrgeam_fill_numeric_multipass_kernelILj256ELj64EiifEEvllNS_24const_host_device_scalarIT3_EEPKT1_PKT2_PKS2_S3_S6_S9_SB_S6_PS2_21rocsparse_index_base_SD_SD_bbb.kd
    .uniform_work_group_size: 1
    .uses_dynamic_stack: false
    .vgpr_count:     26
    .vgpr_spill_count: 0
    .wavefront_size: 32
  - .args:
      - .offset:         0
        .size:           8
        .value_kind:     by_value
      - .offset:         8
        .size:           8
        .value_kind:     by_value
      - .offset:         16
        .size:           8
        .value_kind:     by_value
      - .actual_access:  read_only
        .address_space:  global
        .offset:         24
        .size:           8
        .value_kind:     global_buffer
      - .actual_access:  read_only
        .address_space:  global
        .offset:         32
        .size:           8
        .value_kind:     global_buffer
      - .actual_access:  read_only
        .address_space:  global
        .offset:         40
        .size:           8
        .value_kind:     global_buffer
      - .offset:         48
        .size:           8
        .value_kind:     by_value
      - .actual_access:  read_only
        .address_space:  global
        .offset:         56
        .size:           8
        .value_kind:     global_buffer
      - .actual_access:  read_only
        .address_space:  global
        .offset:         64
        .size:           8
        .value_kind:     global_buffer
      - .actual_access:  read_only
        .address_space:  global
        .offset:         72
        .size:           8
        .value_kind:     global_buffer
      - .actual_access:  read_only
        .address_space:  global
        .offset:         80
        .size:           8
        .value_kind:     global_buffer
      - .actual_access:  write_only
        .address_space:  global
        .offset:         88
        .size:           8
        .value_kind:     global_buffer
      - .offset:         96
        .size:           4
        .value_kind:     by_value
      - .offset:         100
        .size:           4
        .value_kind:     by_value
      - .offset:         104
        .size:           4
        .value_kind:     by_value
      - .offset:         108
        .size:           1
        .value_kind:     by_value
      - .offset:         109
        .size:           1
        .value_kind:     by_value
      - .offset:         110
        .size:           1
        .value_kind:     by_value
    .group_segment_fixed_size: 1280
    .kernarg_segment_align: 8
    .kernarg_segment_size: 112
    .language:       OpenCL C
    .language_version:
      - 2
      - 0
    .max_flat_workgroup_size: 256
    .name:           _ZN9rocsparseL37csrgeam_fill_numeric_multipass_kernelILj256ELj32ElifEEvllNS_24const_host_device_scalarIT3_EEPKT1_PKT2_PKS2_S3_S6_S9_SB_S6_PS2_21rocsparse_index_base_SD_SD_bbb
    .private_segment_fixed_size: 0
    .sgpr_count:     26
    .sgpr_spill_count: 0
    .symbol:         _ZN9rocsparseL37csrgeam_fill_numeric_multipass_kernelILj256ELj32ElifEEvllNS_24const_host_device_scalarIT3_EEPKT1_PKT2_PKS2_S3_S6_S9_SB_S6_PS2_21rocsparse_index_base_SD_SD_bbb.kd
    .uniform_work_group_size: 1
    .uses_dynamic_stack: false
    .vgpr_count:     33
    .vgpr_spill_count: 0
    .wavefront_size: 32
  - .args:
      - .offset:         0
        .size:           8
        .value_kind:     by_value
      - .offset:         8
        .size:           8
        .value_kind:     by_value
      - .offset:         16
        .size:           8
        .value_kind:     by_value
      - .actual_access:  read_only
        .address_space:  global
        .offset:         24
        .size:           8
        .value_kind:     global_buffer
      - .actual_access:  read_only
        .address_space:  global
        .offset:         32
        .size:           8
        .value_kind:     global_buffer
      - .actual_access:  read_only
        .address_space:  global
        .offset:         40
        .size:           8
        .value_kind:     global_buffer
      - .offset:         48
        .size:           8
        .value_kind:     by_value
      - .actual_access:  read_only
        .address_space:  global
        .offset:         56
        .size:           8
        .value_kind:     global_buffer
      - .actual_access:  read_only
        .address_space:  global
        .offset:         64
        .size:           8
        .value_kind:     global_buffer
      - .actual_access:  read_only
        .address_space:  global
        .offset:         72
        .size:           8
        .value_kind:     global_buffer
      - .actual_access:  read_only
        .address_space:  global
        .offset:         80
        .size:           8
        .value_kind:     global_buffer
      - .actual_access:  write_only
        .address_space:  global
        .offset:         88
        .size:           8
        .value_kind:     global_buffer
      - .offset:         96
        .size:           4
        .value_kind:     by_value
      - .offset:         100
        .size:           4
        .value_kind:     by_value
      - .offset:         104
        .size:           4
        .value_kind:     by_value
      - .offset:         108
        .size:           1
        .value_kind:     by_value
      - .offset:         109
        .size:           1
        .value_kind:     by_value
      - .offset:         110
        .size:           1
        .value_kind:     by_value
    .group_segment_fixed_size: 1280
    .kernarg_segment_align: 8
    .kernarg_segment_size: 112
    .language:       OpenCL C
    .language_version:
      - 2
      - 0
    .max_flat_workgroup_size: 256
    .name:           _ZN9rocsparseL37csrgeam_fill_numeric_multipass_kernelILj256ELj64ElifEEvllNS_24const_host_device_scalarIT3_EEPKT1_PKT2_PKS2_S3_S6_S9_SB_S6_PS2_21rocsparse_index_base_SD_SD_bbb
    .private_segment_fixed_size: 0
    .sgpr_count:     26
    .sgpr_spill_count: 0
    .symbol:         _ZN9rocsparseL37csrgeam_fill_numeric_multipass_kernelILj256ELj64ElifEEvllNS_24const_host_device_scalarIT3_EEPKT1_PKT2_PKS2_S3_S6_S9_SB_S6_PS2_21rocsparse_index_base_SD_SD_bbb.kd
    .uniform_work_group_size: 1
    .uses_dynamic_stack: false
    .vgpr_count:     34
    .vgpr_spill_count: 0
    .wavefront_size: 32
  - .args:
      - .offset:         0
        .size:           8
        .value_kind:     by_value
      - .offset:         8
        .size:           8
        .value_kind:     by_value
      - .offset:         16
        .size:           8
        .value_kind:     by_value
      - .actual_access:  read_only
        .address_space:  global
        .offset:         24
        .size:           8
        .value_kind:     global_buffer
      - .actual_access:  read_only
        .address_space:  global
        .offset:         32
        .size:           8
        .value_kind:     global_buffer
      - .actual_access:  read_only
        .address_space:  global
        .offset:         40
        .size:           8
        .value_kind:     global_buffer
      - .offset:         48
        .size:           8
        .value_kind:     by_value
      - .actual_access:  read_only
        .address_space:  global
        .offset:         56
        .size:           8
        .value_kind:     global_buffer
      - .actual_access:  read_only
        .address_space:  global
        .offset:         64
        .size:           8
        .value_kind:     global_buffer
      - .actual_access:  read_only
        .address_space:  global
        .offset:         72
        .size:           8
        .value_kind:     global_buffer
      - .actual_access:  read_only
        .address_space:  global
        .offset:         80
        .size:           8
        .value_kind:     global_buffer
      - .actual_access:  write_only
        .address_space:  global
        .offset:         88
        .size:           8
        .value_kind:     global_buffer
      - .offset:         96
        .size:           4
        .value_kind:     by_value
      - .offset:         100
        .size:           4
        .value_kind:     by_value
      - .offset:         104
        .size:           4
        .value_kind:     by_value
      - .offset:         108
        .size:           1
        .value_kind:     by_value
      - .offset:         109
        .size:           1
        .value_kind:     by_value
      - .offset:         110
        .size:           1
        .value_kind:     by_value
    .group_segment_fixed_size: 1280
    .kernarg_segment_align: 8
    .kernarg_segment_size: 112
    .language:       OpenCL C
    .language_version:
      - 2
      - 0
    .max_flat_workgroup_size: 256
    .name:           _ZN9rocsparseL37csrgeam_fill_numeric_multipass_kernelILj256ELj32EllfEEvllNS_24const_host_device_scalarIT3_EEPKT1_PKT2_PKS2_S3_S6_S9_SB_S6_PS2_21rocsparse_index_base_SD_SD_bbb
    .private_segment_fixed_size: 0
    .sgpr_count:     26
    .sgpr_spill_count: 0
    .symbol:         _ZN9rocsparseL37csrgeam_fill_numeric_multipass_kernelILj256ELj32EllfEEvllNS_24const_host_device_scalarIT3_EEPKT1_PKT2_PKS2_S3_S6_S9_SB_S6_PS2_21rocsparse_index_base_SD_SD_bbb.kd
    .uniform_work_group_size: 1
    .uses_dynamic_stack: false
    .vgpr_count:     35
    .vgpr_spill_count: 0
    .wavefront_size: 32
  - .args:
      - .offset:         0
        .size:           8
        .value_kind:     by_value
      - .offset:         8
        .size:           8
        .value_kind:     by_value
      - .offset:         16
        .size:           8
        .value_kind:     by_value
      - .actual_access:  read_only
        .address_space:  global
        .offset:         24
        .size:           8
        .value_kind:     global_buffer
      - .actual_access:  read_only
        .address_space:  global
        .offset:         32
        .size:           8
        .value_kind:     global_buffer
      - .actual_access:  read_only
        .address_space:  global
        .offset:         40
        .size:           8
        .value_kind:     global_buffer
      - .offset:         48
        .size:           8
        .value_kind:     by_value
      - .actual_access:  read_only
        .address_space:  global
        .offset:         56
        .size:           8
        .value_kind:     global_buffer
      - .actual_access:  read_only
        .address_space:  global
        .offset:         64
        .size:           8
        .value_kind:     global_buffer
      - .actual_access:  read_only
        .address_space:  global
        .offset:         72
        .size:           8
        .value_kind:     global_buffer
      - .actual_access:  read_only
        .address_space:  global
        .offset:         80
        .size:           8
        .value_kind:     global_buffer
      - .actual_access:  write_only
        .address_space:  global
        .offset:         88
        .size:           8
        .value_kind:     global_buffer
      - .offset:         96
        .size:           4
        .value_kind:     by_value
      - .offset:         100
        .size:           4
        .value_kind:     by_value
      - .offset:         104
        .size:           4
        .value_kind:     by_value
      - .offset:         108
        .size:           1
        .value_kind:     by_value
      - .offset:         109
        .size:           1
        .value_kind:     by_value
      - .offset:         110
        .size:           1
        .value_kind:     by_value
    .group_segment_fixed_size: 1280
    .kernarg_segment_align: 8
    .kernarg_segment_size: 112
    .language:       OpenCL C
    .language_version:
      - 2
      - 0
    .max_flat_workgroup_size: 256
    .name:           _ZN9rocsparseL37csrgeam_fill_numeric_multipass_kernelILj256ELj64EllfEEvllNS_24const_host_device_scalarIT3_EEPKT1_PKT2_PKS2_S3_S6_S9_SB_S6_PS2_21rocsparse_index_base_SD_SD_bbb
    .private_segment_fixed_size: 0
    .sgpr_count:     26
    .sgpr_spill_count: 0
    .symbol:         _ZN9rocsparseL37csrgeam_fill_numeric_multipass_kernelILj256ELj64EllfEEvllNS_24const_host_device_scalarIT3_EEPKT1_PKT2_PKS2_S3_S6_S9_SB_S6_PS2_21rocsparse_index_base_SD_SD_bbb.kd
    .uniform_work_group_size: 1
    .uses_dynamic_stack: false
    .vgpr_count:     36
    .vgpr_spill_count: 0
    .wavefront_size: 32
  - .args:
      - .offset:         0
        .size:           8
        .value_kind:     by_value
      - .offset:         8
        .size:           8
        .value_kind:     by_value
      - .offset:         16
        .size:           8
        .value_kind:     by_value
      - .actual_access:  read_only
        .address_space:  global
        .offset:         24
        .size:           8
        .value_kind:     global_buffer
      - .actual_access:  read_only
        .address_space:  global
        .offset:         32
        .size:           8
        .value_kind:     global_buffer
      - .actual_access:  read_only
        .address_space:  global
        .offset:         40
        .size:           8
        .value_kind:     global_buffer
      - .offset:         48
        .size:           8
        .value_kind:     by_value
      - .actual_access:  read_only
        .address_space:  global
        .offset:         56
        .size:           8
        .value_kind:     global_buffer
      - .actual_access:  read_only
        .address_space:  global
        .offset:         64
        .size:           8
        .value_kind:     global_buffer
      - .actual_access:  read_only
        .address_space:  global
        .offset:         72
        .size:           8
        .value_kind:     global_buffer
      - .actual_access:  read_only
        .address_space:  global
        .offset:         80
        .size:           8
        .value_kind:     global_buffer
      - .actual_access:  write_only
        .address_space:  global
        .offset:         88
        .size:           8
        .value_kind:     global_buffer
      - .offset:         96
        .size:           4
        .value_kind:     by_value
      - .offset:         100
        .size:           4
        .value_kind:     by_value
      - .offset:         104
        .size:           4
        .value_kind:     by_value
      - .offset:         108
        .size:           1
        .value_kind:     by_value
      - .offset:         109
        .size:           1
        .value_kind:     by_value
      - .offset:         110
        .size:           1
        .value_kind:     by_value
    .group_segment_fixed_size: 2304
    .kernarg_segment_align: 8
    .kernarg_segment_size: 112
    .language:       OpenCL C
    .language_version:
      - 2
      - 0
    .max_flat_workgroup_size: 256
    .name:           _ZN9rocsparseL37csrgeam_fill_numeric_multipass_kernelILj256ELj32EiidEEvllNS_24const_host_device_scalarIT3_EEPKT1_PKT2_PKS2_S3_S6_S9_SB_S6_PS2_21rocsparse_index_base_SD_SD_bbb
    .private_segment_fixed_size: 0
    .sgpr_count:     21
    .sgpr_spill_count: 0
    .symbol:         _ZN9rocsparseL37csrgeam_fill_numeric_multipass_kernelILj256ELj32EiidEEvllNS_24const_host_device_scalarIT3_EEPKT1_PKT2_PKS2_S3_S6_S9_SB_S6_PS2_21rocsparse_index_base_SD_SD_bbb.kd
    .uniform_work_group_size: 1
    .uses_dynamic_stack: false
    .vgpr_count:     32
    .vgpr_spill_count: 0
    .wavefront_size: 32
  - .args:
      - .offset:         0
        .size:           8
        .value_kind:     by_value
      - .offset:         8
        .size:           8
        .value_kind:     by_value
      - .offset:         16
        .size:           8
        .value_kind:     by_value
      - .actual_access:  read_only
        .address_space:  global
        .offset:         24
        .size:           8
        .value_kind:     global_buffer
      - .actual_access:  read_only
        .address_space:  global
        .offset:         32
        .size:           8
        .value_kind:     global_buffer
      - .actual_access:  read_only
        .address_space:  global
        .offset:         40
        .size:           8
        .value_kind:     global_buffer
      - .offset:         48
        .size:           8
        .value_kind:     by_value
      - .actual_access:  read_only
        .address_space:  global
        .offset:         56
        .size:           8
        .value_kind:     global_buffer
      - .actual_access:  read_only
        .address_space:  global
        .offset:         64
        .size:           8
        .value_kind:     global_buffer
      - .actual_access:  read_only
        .address_space:  global
        .offset:         72
        .size:           8
        .value_kind:     global_buffer
      - .actual_access:  read_only
        .address_space:  global
        .offset:         80
        .size:           8
        .value_kind:     global_buffer
      - .actual_access:  write_only
        .address_space:  global
        .offset:         88
        .size:           8
        .value_kind:     global_buffer
      - .offset:         96
        .size:           4
        .value_kind:     by_value
      - .offset:         100
        .size:           4
        .value_kind:     by_value
      - .offset:         104
        .size:           4
        .value_kind:     by_value
      - .offset:         108
        .size:           1
        .value_kind:     by_value
      - .offset:         109
        .size:           1
        .value_kind:     by_value
      - .offset:         110
        .size:           1
        .value_kind:     by_value
    .group_segment_fixed_size: 2304
    .kernarg_segment_align: 8
    .kernarg_segment_size: 112
    .language:       OpenCL C
    .language_version:
      - 2
      - 0
    .max_flat_workgroup_size: 256
    .name:           _ZN9rocsparseL37csrgeam_fill_numeric_multipass_kernelILj256ELj64EiidEEvllNS_24const_host_device_scalarIT3_EEPKT1_PKT2_PKS2_S3_S6_S9_SB_S6_PS2_21rocsparse_index_base_SD_SD_bbb
    .private_segment_fixed_size: 0
    .sgpr_count:     21
    .sgpr_spill_count: 0
    .symbol:         _ZN9rocsparseL37csrgeam_fill_numeric_multipass_kernelILj256ELj64EiidEEvllNS_24const_host_device_scalarIT3_EEPKT1_PKT2_PKS2_S3_S6_S9_SB_S6_PS2_21rocsparse_index_base_SD_SD_bbb.kd
    .uniform_work_group_size: 1
    .uses_dynamic_stack: false
    .vgpr_count:     34
    .vgpr_spill_count: 0
    .wavefront_size: 32
  - .args:
      - .offset:         0
        .size:           8
        .value_kind:     by_value
      - .offset:         8
        .size:           8
        .value_kind:     by_value
      - .offset:         16
        .size:           8
        .value_kind:     by_value
      - .actual_access:  read_only
        .address_space:  global
        .offset:         24
        .size:           8
        .value_kind:     global_buffer
      - .actual_access:  read_only
        .address_space:  global
        .offset:         32
        .size:           8
        .value_kind:     global_buffer
      - .actual_access:  read_only
        .address_space:  global
        .offset:         40
        .size:           8
        .value_kind:     global_buffer
      - .offset:         48
        .size:           8
        .value_kind:     by_value
      - .actual_access:  read_only
        .address_space:  global
        .offset:         56
        .size:           8
        .value_kind:     global_buffer
      - .actual_access:  read_only
        .address_space:  global
        .offset:         64
        .size:           8
        .value_kind:     global_buffer
      - .actual_access:  read_only
        .address_space:  global
        .offset:         72
        .size:           8
        .value_kind:     global_buffer
      - .actual_access:  read_only
        .address_space:  global
        .offset:         80
        .size:           8
        .value_kind:     global_buffer
      - .actual_access:  write_only
        .address_space:  global
        .offset:         88
        .size:           8
        .value_kind:     global_buffer
      - .offset:         96
        .size:           4
        .value_kind:     by_value
      - .offset:         100
        .size:           4
        .value_kind:     by_value
      - .offset:         104
        .size:           4
        .value_kind:     by_value
      - .offset:         108
        .size:           1
        .value_kind:     by_value
      - .offset:         109
        .size:           1
        .value_kind:     by_value
      - .offset:         110
        .size:           1
        .value_kind:     by_value
    .group_segment_fixed_size: 2304
    .kernarg_segment_align: 8
    .kernarg_segment_size: 112
    .language:       OpenCL C
    .language_version:
      - 2
      - 0
    .max_flat_workgroup_size: 256
    .name:           _ZN9rocsparseL37csrgeam_fill_numeric_multipass_kernelILj256ELj32ElidEEvllNS_24const_host_device_scalarIT3_EEPKT1_PKT2_PKS2_S3_S6_S9_SB_S6_PS2_21rocsparse_index_base_SD_SD_bbb
    .private_segment_fixed_size: 0
    .sgpr_count:     24
    .sgpr_spill_count: 0
    .symbol:         _ZN9rocsparseL37csrgeam_fill_numeric_multipass_kernelILj256ELj32ElidEEvllNS_24const_host_device_scalarIT3_EEPKT1_PKT2_PKS2_S3_S6_S9_SB_S6_PS2_21rocsparse_index_base_SD_SD_bbb.kd
    .uniform_work_group_size: 1
    .uses_dynamic_stack: false
    .vgpr_count:     41
    .vgpr_spill_count: 0
    .wavefront_size: 32
  - .args:
      - .offset:         0
        .size:           8
        .value_kind:     by_value
      - .offset:         8
        .size:           8
        .value_kind:     by_value
      - .offset:         16
        .size:           8
        .value_kind:     by_value
      - .actual_access:  read_only
        .address_space:  global
        .offset:         24
        .size:           8
        .value_kind:     global_buffer
      - .actual_access:  read_only
        .address_space:  global
        .offset:         32
        .size:           8
        .value_kind:     global_buffer
      - .actual_access:  read_only
        .address_space:  global
        .offset:         40
        .size:           8
        .value_kind:     global_buffer
      - .offset:         48
        .size:           8
        .value_kind:     by_value
      - .actual_access:  read_only
        .address_space:  global
        .offset:         56
        .size:           8
        .value_kind:     global_buffer
      - .actual_access:  read_only
        .address_space:  global
        .offset:         64
        .size:           8
        .value_kind:     global_buffer
      - .actual_access:  read_only
        .address_space:  global
        .offset:         72
        .size:           8
        .value_kind:     global_buffer
      - .actual_access:  read_only
        .address_space:  global
        .offset:         80
        .size:           8
        .value_kind:     global_buffer
      - .actual_access:  write_only
        .address_space:  global
        .offset:         88
        .size:           8
        .value_kind:     global_buffer
      - .offset:         96
        .size:           4
        .value_kind:     by_value
      - .offset:         100
        .size:           4
        .value_kind:     by_value
      - .offset:         104
        .size:           4
        .value_kind:     by_value
      - .offset:         108
        .size:           1
        .value_kind:     by_value
      - .offset:         109
        .size:           1
        .value_kind:     by_value
      - .offset:         110
        .size:           1
        .value_kind:     by_value
    .group_segment_fixed_size: 2304
    .kernarg_segment_align: 8
    .kernarg_segment_size: 112
    .language:       OpenCL C
    .language_version:
      - 2
      - 0
    .max_flat_workgroup_size: 256
    .name:           _ZN9rocsparseL37csrgeam_fill_numeric_multipass_kernelILj256ELj64ElidEEvllNS_24const_host_device_scalarIT3_EEPKT1_PKT2_PKS2_S3_S6_S9_SB_S6_PS2_21rocsparse_index_base_SD_SD_bbb
    .private_segment_fixed_size: 0
    .sgpr_count:     24
    .sgpr_spill_count: 0
    .symbol:         _ZN9rocsparseL37csrgeam_fill_numeric_multipass_kernelILj256ELj64ElidEEvllNS_24const_host_device_scalarIT3_EEPKT1_PKT2_PKS2_S3_S6_S9_SB_S6_PS2_21rocsparse_index_base_SD_SD_bbb.kd
    .uniform_work_group_size: 1
    .uses_dynamic_stack: false
    .vgpr_count:     42
    .vgpr_spill_count: 0
    .wavefront_size: 32
  - .args:
      - .offset:         0
        .size:           8
        .value_kind:     by_value
      - .offset:         8
        .size:           8
        .value_kind:     by_value
      - .offset:         16
        .size:           8
        .value_kind:     by_value
      - .actual_access:  read_only
        .address_space:  global
        .offset:         24
        .size:           8
        .value_kind:     global_buffer
      - .actual_access:  read_only
        .address_space:  global
        .offset:         32
        .size:           8
        .value_kind:     global_buffer
      - .actual_access:  read_only
        .address_space:  global
        .offset:         40
        .size:           8
        .value_kind:     global_buffer
      - .offset:         48
        .size:           8
        .value_kind:     by_value
      - .actual_access:  read_only
        .address_space:  global
        .offset:         56
        .size:           8
        .value_kind:     global_buffer
      - .actual_access:  read_only
        .address_space:  global
        .offset:         64
        .size:           8
        .value_kind:     global_buffer
      - .actual_access:  read_only
        .address_space:  global
        .offset:         72
        .size:           8
        .value_kind:     global_buffer
      - .actual_access:  read_only
        .address_space:  global
        .offset:         80
        .size:           8
        .value_kind:     global_buffer
      - .actual_access:  write_only
        .address_space:  global
        .offset:         88
        .size:           8
        .value_kind:     global_buffer
      - .offset:         96
        .size:           4
        .value_kind:     by_value
      - .offset:         100
        .size:           4
        .value_kind:     by_value
      - .offset:         104
        .size:           4
        .value_kind:     by_value
      - .offset:         108
        .size:           1
        .value_kind:     by_value
      - .offset:         109
        .size:           1
        .value_kind:     by_value
      - .offset:         110
        .size:           1
        .value_kind:     by_value
    .group_segment_fixed_size: 2304
    .kernarg_segment_align: 8
    .kernarg_segment_size: 112
    .language:       OpenCL C
    .language_version:
      - 2
      - 0
    .max_flat_workgroup_size: 256
    .name:           _ZN9rocsparseL37csrgeam_fill_numeric_multipass_kernelILj256ELj32ElldEEvllNS_24const_host_device_scalarIT3_EEPKT1_PKT2_PKS2_S3_S6_S9_SB_S6_PS2_21rocsparse_index_base_SD_SD_bbb
    .private_segment_fixed_size: 0
    .sgpr_count:     24
    .sgpr_spill_count: 0
    .symbol:         _ZN9rocsparseL37csrgeam_fill_numeric_multipass_kernelILj256ELj32ElldEEvllNS_24const_host_device_scalarIT3_EEPKT1_PKT2_PKS2_S3_S6_S9_SB_S6_PS2_21rocsparse_index_base_SD_SD_bbb.kd
    .uniform_work_group_size: 1
    .uses_dynamic_stack: false
    .vgpr_count:     44
    .vgpr_spill_count: 0
    .wavefront_size: 32
  - .args:
      - .offset:         0
        .size:           8
        .value_kind:     by_value
      - .offset:         8
        .size:           8
        .value_kind:     by_value
      - .offset:         16
        .size:           8
        .value_kind:     by_value
      - .actual_access:  read_only
        .address_space:  global
        .offset:         24
        .size:           8
        .value_kind:     global_buffer
      - .actual_access:  read_only
        .address_space:  global
        .offset:         32
        .size:           8
        .value_kind:     global_buffer
      - .actual_access:  read_only
        .address_space:  global
        .offset:         40
        .size:           8
        .value_kind:     global_buffer
      - .offset:         48
        .size:           8
        .value_kind:     by_value
      - .actual_access:  read_only
        .address_space:  global
        .offset:         56
        .size:           8
        .value_kind:     global_buffer
      - .actual_access:  read_only
        .address_space:  global
        .offset:         64
        .size:           8
        .value_kind:     global_buffer
      - .actual_access:  read_only
        .address_space:  global
        .offset:         72
        .size:           8
        .value_kind:     global_buffer
      - .actual_access:  read_only
        .address_space:  global
        .offset:         80
        .size:           8
        .value_kind:     global_buffer
      - .actual_access:  write_only
        .address_space:  global
        .offset:         88
        .size:           8
        .value_kind:     global_buffer
      - .offset:         96
        .size:           4
        .value_kind:     by_value
      - .offset:         100
        .size:           4
        .value_kind:     by_value
      - .offset:         104
        .size:           4
        .value_kind:     by_value
      - .offset:         108
        .size:           1
        .value_kind:     by_value
      - .offset:         109
        .size:           1
        .value_kind:     by_value
      - .offset:         110
        .size:           1
        .value_kind:     by_value
    .group_segment_fixed_size: 2304
    .kernarg_segment_align: 8
    .kernarg_segment_size: 112
    .language:       OpenCL C
    .language_version:
      - 2
      - 0
    .max_flat_workgroup_size: 256
    .name:           _ZN9rocsparseL37csrgeam_fill_numeric_multipass_kernelILj256ELj64ElldEEvllNS_24const_host_device_scalarIT3_EEPKT1_PKT2_PKS2_S3_S6_S9_SB_S6_PS2_21rocsparse_index_base_SD_SD_bbb
    .private_segment_fixed_size: 0
    .sgpr_count:     24
    .sgpr_spill_count: 0
    .symbol:         _ZN9rocsparseL37csrgeam_fill_numeric_multipass_kernelILj256ELj64ElldEEvllNS_24const_host_device_scalarIT3_EEPKT1_PKT2_PKS2_S3_S6_S9_SB_S6_PS2_21rocsparse_index_base_SD_SD_bbb.kd
    .uniform_work_group_size: 1
    .uses_dynamic_stack: false
    .vgpr_count:     44
    .vgpr_spill_count: 0
    .wavefront_size: 32
  - .args:
      - .offset:         0
        .size:           8
        .value_kind:     by_value
      - .offset:         8
        .size:           8
        .value_kind:     by_value
      - .offset:         16
        .size:           8
        .value_kind:     by_value
      - .actual_access:  read_only
        .address_space:  global
        .offset:         24
        .size:           8
        .value_kind:     global_buffer
      - .actual_access:  read_only
        .address_space:  global
        .offset:         32
        .size:           8
        .value_kind:     global_buffer
      - .actual_access:  read_only
        .address_space:  global
        .offset:         40
        .size:           8
        .value_kind:     global_buffer
      - .offset:         48
        .size:           8
        .value_kind:     by_value
      - .actual_access:  read_only
        .address_space:  global
        .offset:         56
        .size:           8
        .value_kind:     global_buffer
      - .actual_access:  read_only
        .address_space:  global
        .offset:         64
        .size:           8
        .value_kind:     global_buffer
      - .actual_access:  read_only
        .address_space:  global
        .offset:         72
        .size:           8
        .value_kind:     global_buffer
      - .actual_access:  read_only
        .address_space:  global
        .offset:         80
        .size:           8
        .value_kind:     global_buffer
      - .actual_access:  write_only
        .address_space:  global
        .offset:         88
        .size:           8
        .value_kind:     global_buffer
      - .offset:         96
        .size:           4
        .value_kind:     by_value
      - .offset:         100
        .size:           4
        .value_kind:     by_value
      - .offset:         104
        .size:           4
        .value_kind:     by_value
      - .offset:         108
        .size:           1
        .value_kind:     by_value
      - .offset:         109
        .size:           1
        .value_kind:     by_value
      - .offset:         110
        .size:           1
        .value_kind:     by_value
    .group_segment_fixed_size: 2304
    .kernarg_segment_align: 8
    .kernarg_segment_size: 112
    .language:       OpenCL C
    .language_version:
      - 2
      - 0
    .max_flat_workgroup_size: 256
    .name:           _ZN9rocsparseL37csrgeam_fill_numeric_multipass_kernelILj256ELj32Eii21rocsparse_complex_numIfEEEvllNS_24const_host_device_scalarIT3_EEPKT1_PKT2_PKS4_S5_S8_SB_SD_S8_PS4_21rocsparse_index_base_SF_SF_bbb
    .private_segment_fixed_size: 0
    .sgpr_count:     34
    .sgpr_spill_count: 0
    .symbol:         _ZN9rocsparseL37csrgeam_fill_numeric_multipass_kernelILj256ELj32Eii21rocsparse_complex_numIfEEEvllNS_24const_host_device_scalarIT3_EEPKT1_PKT2_PKS4_S5_S8_SB_SD_S8_PS4_21rocsparse_index_base_SF_SF_bbb.kd
    .uniform_work_group_size: 1
    .uses_dynamic_stack: false
    .vgpr_count:     30
    .vgpr_spill_count: 0
    .wavefront_size: 32
  - .args:
      - .offset:         0
        .size:           8
        .value_kind:     by_value
      - .offset:         8
        .size:           8
        .value_kind:     by_value
      - .offset:         16
        .size:           8
        .value_kind:     by_value
      - .actual_access:  read_only
        .address_space:  global
        .offset:         24
        .size:           8
        .value_kind:     global_buffer
      - .actual_access:  read_only
        .address_space:  global
        .offset:         32
        .size:           8
        .value_kind:     global_buffer
      - .actual_access:  read_only
        .address_space:  global
        .offset:         40
        .size:           8
        .value_kind:     global_buffer
      - .offset:         48
        .size:           8
        .value_kind:     by_value
      - .actual_access:  read_only
        .address_space:  global
        .offset:         56
        .size:           8
        .value_kind:     global_buffer
      - .actual_access:  read_only
        .address_space:  global
        .offset:         64
        .size:           8
        .value_kind:     global_buffer
      - .actual_access:  read_only
        .address_space:  global
        .offset:         72
        .size:           8
        .value_kind:     global_buffer
      - .actual_access:  read_only
        .address_space:  global
        .offset:         80
        .size:           8
        .value_kind:     global_buffer
      - .actual_access:  write_only
        .address_space:  global
        .offset:         88
        .size:           8
        .value_kind:     global_buffer
      - .offset:         96
        .size:           4
        .value_kind:     by_value
      - .offset:         100
        .size:           4
        .value_kind:     by_value
      - .offset:         104
        .size:           4
        .value_kind:     by_value
      - .offset:         108
        .size:           1
        .value_kind:     by_value
      - .offset:         109
        .size:           1
        .value_kind:     by_value
      - .offset:         110
        .size:           1
        .value_kind:     by_value
    .group_segment_fixed_size: 2304
    .kernarg_segment_align: 8
    .kernarg_segment_size: 112
    .language:       OpenCL C
    .language_version:
      - 2
      - 0
    .max_flat_workgroup_size: 256
    .name:           _ZN9rocsparseL37csrgeam_fill_numeric_multipass_kernelILj256ELj64Eii21rocsparse_complex_numIfEEEvllNS_24const_host_device_scalarIT3_EEPKT1_PKT2_PKS4_S5_S8_SB_SD_S8_PS4_21rocsparse_index_base_SF_SF_bbb
    .private_segment_fixed_size: 0
    .sgpr_count:     34
    .sgpr_spill_count: 0
    .symbol:         _ZN9rocsparseL37csrgeam_fill_numeric_multipass_kernelILj256ELj64Eii21rocsparse_complex_numIfEEEvllNS_24const_host_device_scalarIT3_EEPKT1_PKT2_PKS4_S5_S8_SB_SD_S8_PS4_21rocsparse_index_base_SF_SF_bbb.kd
    .uniform_work_group_size: 1
    .uses_dynamic_stack: false
    .vgpr_count:     32
    .vgpr_spill_count: 0
    .wavefront_size: 32
  - .args:
      - .offset:         0
        .size:           8
        .value_kind:     by_value
      - .offset:         8
        .size:           8
        .value_kind:     by_value
      - .offset:         16
        .size:           8
        .value_kind:     by_value
      - .actual_access:  read_only
        .address_space:  global
        .offset:         24
        .size:           8
        .value_kind:     global_buffer
      - .actual_access:  read_only
        .address_space:  global
        .offset:         32
        .size:           8
        .value_kind:     global_buffer
      - .actual_access:  read_only
        .address_space:  global
        .offset:         40
        .size:           8
        .value_kind:     global_buffer
      - .offset:         48
        .size:           8
        .value_kind:     by_value
      - .actual_access:  read_only
        .address_space:  global
        .offset:         56
        .size:           8
        .value_kind:     global_buffer
      - .actual_access:  read_only
        .address_space:  global
        .offset:         64
        .size:           8
        .value_kind:     global_buffer
      - .actual_access:  read_only
        .address_space:  global
        .offset:         72
        .size:           8
        .value_kind:     global_buffer
      - .actual_access:  read_only
        .address_space:  global
        .offset:         80
        .size:           8
        .value_kind:     global_buffer
      - .actual_access:  write_only
        .address_space:  global
        .offset:         88
        .size:           8
        .value_kind:     global_buffer
      - .offset:         96
        .size:           4
        .value_kind:     by_value
      - .offset:         100
        .size:           4
        .value_kind:     by_value
      - .offset:         104
        .size:           4
        .value_kind:     by_value
      - .offset:         108
        .size:           1
        .value_kind:     by_value
      - .offset:         109
        .size:           1
        .value_kind:     by_value
      - .offset:         110
        .size:           1
        .value_kind:     by_value
    .group_segment_fixed_size: 2304
    .kernarg_segment_align: 8
    .kernarg_segment_size: 112
    .language:       OpenCL C
    .language_version:
      - 2
      - 0
    .max_flat_workgroup_size: 256
    .name:           _ZN9rocsparseL37csrgeam_fill_numeric_multipass_kernelILj256ELj32Eli21rocsparse_complex_numIfEEEvllNS_24const_host_device_scalarIT3_EEPKT1_PKT2_PKS4_S5_S8_SB_SD_S8_PS4_21rocsparse_index_base_SF_SF_bbb
    .private_segment_fixed_size: 0
    .sgpr_count:     34
    .sgpr_spill_count: 0
    .symbol:         _ZN9rocsparseL37csrgeam_fill_numeric_multipass_kernelILj256ELj32Eli21rocsparse_complex_numIfEEEvllNS_24const_host_device_scalarIT3_EEPKT1_PKT2_PKS4_S5_S8_SB_SD_S8_PS4_21rocsparse_index_base_SF_SF_bbb.kd
    .uniform_work_group_size: 1
    .uses_dynamic_stack: false
    .vgpr_count:     39
    .vgpr_spill_count: 0
    .wavefront_size: 32
  - .args:
      - .offset:         0
        .size:           8
        .value_kind:     by_value
      - .offset:         8
        .size:           8
        .value_kind:     by_value
      - .offset:         16
        .size:           8
        .value_kind:     by_value
      - .actual_access:  read_only
        .address_space:  global
        .offset:         24
        .size:           8
        .value_kind:     global_buffer
      - .actual_access:  read_only
        .address_space:  global
        .offset:         32
        .size:           8
        .value_kind:     global_buffer
      - .actual_access:  read_only
        .address_space:  global
        .offset:         40
        .size:           8
        .value_kind:     global_buffer
      - .offset:         48
        .size:           8
        .value_kind:     by_value
      - .actual_access:  read_only
        .address_space:  global
        .offset:         56
        .size:           8
        .value_kind:     global_buffer
      - .actual_access:  read_only
        .address_space:  global
        .offset:         64
        .size:           8
        .value_kind:     global_buffer
      - .actual_access:  read_only
        .address_space:  global
        .offset:         72
        .size:           8
        .value_kind:     global_buffer
      - .actual_access:  read_only
        .address_space:  global
        .offset:         80
        .size:           8
        .value_kind:     global_buffer
      - .actual_access:  write_only
        .address_space:  global
        .offset:         88
        .size:           8
        .value_kind:     global_buffer
      - .offset:         96
        .size:           4
        .value_kind:     by_value
      - .offset:         100
        .size:           4
        .value_kind:     by_value
      - .offset:         104
        .size:           4
        .value_kind:     by_value
      - .offset:         108
        .size:           1
        .value_kind:     by_value
      - .offset:         109
        .size:           1
        .value_kind:     by_value
      - .offset:         110
        .size:           1
        .value_kind:     by_value
    .group_segment_fixed_size: 2304
    .kernarg_segment_align: 8
    .kernarg_segment_size: 112
    .language:       OpenCL C
    .language_version:
      - 2
      - 0
    .max_flat_workgroup_size: 256
    .name:           _ZN9rocsparseL37csrgeam_fill_numeric_multipass_kernelILj256ELj64Eli21rocsparse_complex_numIfEEEvllNS_24const_host_device_scalarIT3_EEPKT1_PKT2_PKS4_S5_S8_SB_SD_S8_PS4_21rocsparse_index_base_SF_SF_bbb
    .private_segment_fixed_size: 0
    .sgpr_count:     34
    .sgpr_spill_count: 0
    .symbol:         _ZN9rocsparseL37csrgeam_fill_numeric_multipass_kernelILj256ELj64Eli21rocsparse_complex_numIfEEEvllNS_24const_host_device_scalarIT3_EEPKT1_PKT2_PKS4_S5_S8_SB_SD_S8_PS4_21rocsparse_index_base_SF_SF_bbb.kd
    .uniform_work_group_size: 1
    .uses_dynamic_stack: false
    .vgpr_count:     40
    .vgpr_spill_count: 0
    .wavefront_size: 32
  - .args:
      - .offset:         0
        .size:           8
        .value_kind:     by_value
      - .offset:         8
        .size:           8
        .value_kind:     by_value
      - .offset:         16
        .size:           8
        .value_kind:     by_value
      - .actual_access:  read_only
        .address_space:  global
        .offset:         24
        .size:           8
        .value_kind:     global_buffer
      - .actual_access:  read_only
        .address_space:  global
        .offset:         32
        .size:           8
        .value_kind:     global_buffer
      - .actual_access:  read_only
        .address_space:  global
        .offset:         40
        .size:           8
        .value_kind:     global_buffer
      - .offset:         48
        .size:           8
        .value_kind:     by_value
      - .actual_access:  read_only
        .address_space:  global
        .offset:         56
        .size:           8
        .value_kind:     global_buffer
      - .actual_access:  read_only
        .address_space:  global
        .offset:         64
        .size:           8
        .value_kind:     global_buffer
      - .actual_access:  read_only
        .address_space:  global
        .offset:         72
        .size:           8
        .value_kind:     global_buffer
      - .actual_access:  read_only
        .address_space:  global
        .offset:         80
        .size:           8
        .value_kind:     global_buffer
      - .actual_access:  write_only
        .address_space:  global
        .offset:         88
        .size:           8
        .value_kind:     global_buffer
      - .offset:         96
        .size:           4
        .value_kind:     by_value
      - .offset:         100
        .size:           4
        .value_kind:     by_value
      - .offset:         104
        .size:           4
        .value_kind:     by_value
      - .offset:         108
        .size:           1
        .value_kind:     by_value
      - .offset:         109
        .size:           1
        .value_kind:     by_value
      - .offset:         110
        .size:           1
        .value_kind:     by_value
    .group_segment_fixed_size: 2304
    .kernarg_segment_align: 8
    .kernarg_segment_size: 112
    .language:       OpenCL C
    .language_version:
      - 2
      - 0
    .max_flat_workgroup_size: 256
    .name:           _ZN9rocsparseL37csrgeam_fill_numeric_multipass_kernelILj256ELj32Ell21rocsparse_complex_numIfEEEvllNS_24const_host_device_scalarIT3_EEPKT1_PKT2_PKS4_S5_S8_SB_SD_S8_PS4_21rocsparse_index_base_SF_SF_bbb
    .private_segment_fixed_size: 0
    .sgpr_count:     34
    .sgpr_spill_count: 0
    .symbol:         _ZN9rocsparseL37csrgeam_fill_numeric_multipass_kernelILj256ELj32Ell21rocsparse_complex_numIfEEEvllNS_24const_host_device_scalarIT3_EEPKT1_PKT2_PKS4_S5_S8_SB_SD_S8_PS4_21rocsparse_index_base_SF_SF_bbb.kd
    .uniform_work_group_size: 1
    .uses_dynamic_stack: false
    .vgpr_count:     42
    .vgpr_spill_count: 0
    .wavefront_size: 32
  - .args:
      - .offset:         0
        .size:           8
        .value_kind:     by_value
      - .offset:         8
        .size:           8
        .value_kind:     by_value
      - .offset:         16
        .size:           8
        .value_kind:     by_value
      - .actual_access:  read_only
        .address_space:  global
        .offset:         24
        .size:           8
        .value_kind:     global_buffer
      - .actual_access:  read_only
        .address_space:  global
        .offset:         32
        .size:           8
        .value_kind:     global_buffer
      - .actual_access:  read_only
        .address_space:  global
        .offset:         40
        .size:           8
        .value_kind:     global_buffer
      - .offset:         48
        .size:           8
        .value_kind:     by_value
      - .actual_access:  read_only
        .address_space:  global
        .offset:         56
        .size:           8
        .value_kind:     global_buffer
      - .actual_access:  read_only
        .address_space:  global
        .offset:         64
        .size:           8
        .value_kind:     global_buffer
      - .actual_access:  read_only
        .address_space:  global
        .offset:         72
        .size:           8
        .value_kind:     global_buffer
      - .actual_access:  read_only
        .address_space:  global
        .offset:         80
        .size:           8
        .value_kind:     global_buffer
      - .actual_access:  write_only
        .address_space:  global
        .offset:         88
        .size:           8
        .value_kind:     global_buffer
      - .offset:         96
        .size:           4
        .value_kind:     by_value
      - .offset:         100
        .size:           4
        .value_kind:     by_value
      - .offset:         104
        .size:           4
        .value_kind:     by_value
      - .offset:         108
        .size:           1
        .value_kind:     by_value
      - .offset:         109
        .size:           1
        .value_kind:     by_value
      - .offset:         110
        .size:           1
        .value_kind:     by_value
    .group_segment_fixed_size: 2304
    .kernarg_segment_align: 8
    .kernarg_segment_size: 112
    .language:       OpenCL C
    .language_version:
      - 2
      - 0
    .max_flat_workgroup_size: 256
    .name:           _ZN9rocsparseL37csrgeam_fill_numeric_multipass_kernelILj256ELj64Ell21rocsparse_complex_numIfEEEvllNS_24const_host_device_scalarIT3_EEPKT1_PKT2_PKS4_S5_S8_SB_SD_S8_PS4_21rocsparse_index_base_SF_SF_bbb
    .private_segment_fixed_size: 0
    .sgpr_count:     34
    .sgpr_spill_count: 0
    .symbol:         _ZN9rocsparseL37csrgeam_fill_numeric_multipass_kernelILj256ELj64Ell21rocsparse_complex_numIfEEEvllNS_24const_host_device_scalarIT3_EEPKT1_PKT2_PKS4_S5_S8_SB_SD_S8_PS4_21rocsparse_index_base_SF_SF_bbb.kd
    .uniform_work_group_size: 1
    .uses_dynamic_stack: false
    .vgpr_count:     43
    .vgpr_spill_count: 0
    .wavefront_size: 32
  - .args:
      - .offset:         0
        .size:           8
        .value_kind:     by_value
      - .offset:         8
        .size:           8
        .value_kind:     by_value
      - .offset:         16
        .size:           16
        .value_kind:     by_value
      - .actual_access:  read_only
        .address_space:  global
        .offset:         32
        .size:           8
        .value_kind:     global_buffer
      - .actual_access:  read_only
        .address_space:  global
        .offset:         40
        .size:           8
        .value_kind:     global_buffer
      - .actual_access:  read_only
        .address_space:  global
        .offset:         48
        .size:           8
        .value_kind:     global_buffer
      - .offset:         56
        .size:           16
        .value_kind:     by_value
      - .actual_access:  read_only
        .address_space:  global
        .offset:         72
        .size:           8
        .value_kind:     global_buffer
      - .actual_access:  read_only
        .address_space:  global
        .offset:         80
        .size:           8
        .value_kind:     global_buffer
      - .actual_access:  read_only
        .address_space:  global
        .offset:         88
        .size:           8
        .value_kind:     global_buffer
      - .actual_access:  read_only
        .address_space:  global
        .offset:         96
        .size:           8
        .value_kind:     global_buffer
      - .actual_access:  write_only
        .address_space:  global
        .offset:         104
        .size:           8
        .value_kind:     global_buffer
      - .offset:         112
        .size:           4
        .value_kind:     by_value
      - .offset:         116
        .size:           4
        .value_kind:     by_value
      - .offset:         120
        .size:           4
        .value_kind:     by_value
      - .offset:         124
        .size:           1
        .value_kind:     by_value
      - .offset:         125
        .size:           1
        .value_kind:     by_value
      - .offset:         126
        .size:           1
        .value_kind:     by_value
    .group_segment_fixed_size: 4352
    .kernarg_segment_align: 8
    .kernarg_segment_size: 128
    .language:       OpenCL C
    .language_version:
      - 2
      - 0
    .max_flat_workgroup_size: 256
    .name:           _ZN9rocsparseL37csrgeam_fill_numeric_multipass_kernelILj256ELj32Eii21rocsparse_complex_numIdEEEvllNS_24const_host_device_scalarIT3_EEPKT1_PKT2_PKS4_S5_S8_SB_SD_S8_PS4_21rocsparse_index_base_SF_SF_bbb
    .private_segment_fixed_size: 24
    .sgpr_count:     23
    .sgpr_spill_count: 0
    .symbol:         _ZN9rocsparseL37csrgeam_fill_numeric_multipass_kernelILj256ELj32Eii21rocsparse_complex_numIdEEEvllNS_24const_host_device_scalarIT3_EEPKT1_PKT2_PKS4_S5_S8_SB_SD_S8_PS4_21rocsparse_index_base_SF_SF_bbb.kd
    .uniform_work_group_size: 1
    .uses_dynamic_stack: false
    .vgpr_count:     42
    .vgpr_spill_count: 0
    .wavefront_size: 32
  - .args:
      - .offset:         0
        .size:           8
        .value_kind:     by_value
      - .offset:         8
        .size:           8
        .value_kind:     by_value
      - .offset:         16
        .size:           16
        .value_kind:     by_value
      - .actual_access:  read_only
        .address_space:  global
        .offset:         32
        .size:           8
        .value_kind:     global_buffer
      - .actual_access:  read_only
        .address_space:  global
        .offset:         40
        .size:           8
        .value_kind:     global_buffer
      - .actual_access:  read_only
        .address_space:  global
        .offset:         48
        .size:           8
        .value_kind:     global_buffer
      - .offset:         56
        .size:           16
        .value_kind:     by_value
      - .actual_access:  read_only
        .address_space:  global
        .offset:         72
        .size:           8
        .value_kind:     global_buffer
      - .actual_access:  read_only
        .address_space:  global
        .offset:         80
        .size:           8
        .value_kind:     global_buffer
      - .actual_access:  read_only
        .address_space:  global
        .offset:         88
        .size:           8
        .value_kind:     global_buffer
      - .actual_access:  read_only
        .address_space:  global
        .offset:         96
        .size:           8
        .value_kind:     global_buffer
      - .actual_access:  write_only
        .address_space:  global
        .offset:         104
        .size:           8
        .value_kind:     global_buffer
      - .offset:         112
        .size:           4
        .value_kind:     by_value
      - .offset:         116
        .size:           4
        .value_kind:     by_value
      - .offset:         120
        .size:           4
        .value_kind:     by_value
      - .offset:         124
        .size:           1
        .value_kind:     by_value
      - .offset:         125
        .size:           1
        .value_kind:     by_value
      - .offset:         126
        .size:           1
        .value_kind:     by_value
    .group_segment_fixed_size: 4352
    .kernarg_segment_align: 8
    .kernarg_segment_size: 128
    .language:       OpenCL C
    .language_version:
      - 2
      - 0
    .max_flat_workgroup_size: 256
    .name:           _ZN9rocsparseL37csrgeam_fill_numeric_multipass_kernelILj256ELj64Eii21rocsparse_complex_numIdEEEvllNS_24const_host_device_scalarIT3_EEPKT1_PKT2_PKS4_S5_S8_SB_SD_S8_PS4_21rocsparse_index_base_SF_SF_bbb
    .private_segment_fixed_size: 24
    .sgpr_count:     23
    .sgpr_spill_count: 0
    .symbol:         _ZN9rocsparseL37csrgeam_fill_numeric_multipass_kernelILj256ELj64Eii21rocsparse_complex_numIdEEEvllNS_24const_host_device_scalarIT3_EEPKT1_PKT2_PKS4_S5_S8_SB_SD_S8_PS4_21rocsparse_index_base_SF_SF_bbb.kd
    .uniform_work_group_size: 1
    .uses_dynamic_stack: false
    .vgpr_count:     42
    .vgpr_spill_count: 0
    .wavefront_size: 32
  - .args:
      - .offset:         0
        .size:           8
        .value_kind:     by_value
      - .offset:         8
        .size:           8
        .value_kind:     by_value
      - .offset:         16
        .size:           16
        .value_kind:     by_value
      - .actual_access:  read_only
        .address_space:  global
        .offset:         32
        .size:           8
        .value_kind:     global_buffer
      - .actual_access:  read_only
        .address_space:  global
        .offset:         40
        .size:           8
        .value_kind:     global_buffer
      - .actual_access:  read_only
        .address_space:  global
        .offset:         48
        .size:           8
        .value_kind:     global_buffer
      - .offset:         56
        .size:           16
        .value_kind:     by_value
      - .actual_access:  read_only
        .address_space:  global
        .offset:         72
        .size:           8
        .value_kind:     global_buffer
      - .actual_access:  read_only
        .address_space:  global
        .offset:         80
        .size:           8
        .value_kind:     global_buffer
      - .actual_access:  read_only
        .address_space:  global
        .offset:         88
        .size:           8
        .value_kind:     global_buffer
      - .actual_access:  read_only
        .address_space:  global
        .offset:         96
        .size:           8
        .value_kind:     global_buffer
      - .actual_access:  write_only
        .address_space:  global
        .offset:         104
        .size:           8
        .value_kind:     global_buffer
      - .offset:         112
        .size:           4
        .value_kind:     by_value
      - .offset:         116
        .size:           4
        .value_kind:     by_value
      - .offset:         120
        .size:           4
        .value_kind:     by_value
      - .offset:         124
        .size:           1
        .value_kind:     by_value
      - .offset:         125
        .size:           1
        .value_kind:     by_value
      - .offset:         126
        .size:           1
        .value_kind:     by_value
    .group_segment_fixed_size: 4352
    .kernarg_segment_align: 8
    .kernarg_segment_size: 128
    .language:       OpenCL C
    .language_version:
      - 2
      - 0
    .max_flat_workgroup_size: 256
    .name:           _ZN9rocsparseL37csrgeam_fill_numeric_multipass_kernelILj256ELj32Eli21rocsparse_complex_numIdEEEvllNS_24const_host_device_scalarIT3_EEPKT1_PKT2_PKS4_S5_S8_SB_SD_S8_PS4_21rocsparse_index_base_SF_SF_bbb
    .private_segment_fixed_size: 24
    .sgpr_count:     24
    .sgpr_spill_count: 0
    .symbol:         _ZN9rocsparseL37csrgeam_fill_numeric_multipass_kernelILj256ELj32Eli21rocsparse_complex_numIdEEEvllNS_24const_host_device_scalarIT3_EEPKT1_PKT2_PKS4_S5_S8_SB_SD_S8_PS4_21rocsparse_index_base_SF_SF_bbb.kd
    .uniform_work_group_size: 1
    .uses_dynamic_stack: false
    .vgpr_count:     51
    .vgpr_spill_count: 0
    .wavefront_size: 32
  - .args:
      - .offset:         0
        .size:           8
        .value_kind:     by_value
      - .offset:         8
        .size:           8
        .value_kind:     by_value
      - .offset:         16
        .size:           16
        .value_kind:     by_value
      - .actual_access:  read_only
        .address_space:  global
        .offset:         32
        .size:           8
        .value_kind:     global_buffer
      - .actual_access:  read_only
        .address_space:  global
        .offset:         40
        .size:           8
        .value_kind:     global_buffer
      - .actual_access:  read_only
        .address_space:  global
        .offset:         48
        .size:           8
        .value_kind:     global_buffer
      - .offset:         56
        .size:           16
        .value_kind:     by_value
      - .actual_access:  read_only
        .address_space:  global
        .offset:         72
        .size:           8
        .value_kind:     global_buffer
      - .actual_access:  read_only
        .address_space:  global
        .offset:         80
        .size:           8
        .value_kind:     global_buffer
      - .actual_access:  read_only
        .address_space:  global
        .offset:         88
        .size:           8
        .value_kind:     global_buffer
      - .actual_access:  read_only
        .address_space:  global
        .offset:         96
        .size:           8
        .value_kind:     global_buffer
      - .actual_access:  write_only
        .address_space:  global
        .offset:         104
        .size:           8
        .value_kind:     global_buffer
      - .offset:         112
        .size:           4
        .value_kind:     by_value
      - .offset:         116
        .size:           4
        .value_kind:     by_value
      - .offset:         120
        .size:           4
        .value_kind:     by_value
      - .offset:         124
        .size:           1
        .value_kind:     by_value
      - .offset:         125
        .size:           1
        .value_kind:     by_value
      - .offset:         126
        .size:           1
        .value_kind:     by_value
    .group_segment_fixed_size: 4352
    .kernarg_segment_align: 8
    .kernarg_segment_size: 128
    .language:       OpenCL C
    .language_version:
      - 2
      - 0
    .max_flat_workgroup_size: 256
    .name:           _ZN9rocsparseL37csrgeam_fill_numeric_multipass_kernelILj256ELj64Eli21rocsparse_complex_numIdEEEvllNS_24const_host_device_scalarIT3_EEPKT1_PKT2_PKS4_S5_S8_SB_SD_S8_PS4_21rocsparse_index_base_SF_SF_bbb
    .private_segment_fixed_size: 24
    .sgpr_count:     24
    .sgpr_spill_count: 0
    .symbol:         _ZN9rocsparseL37csrgeam_fill_numeric_multipass_kernelILj256ELj64Eli21rocsparse_complex_numIdEEEvllNS_24const_host_device_scalarIT3_EEPKT1_PKT2_PKS4_S5_S8_SB_SD_S8_PS4_21rocsparse_index_base_SF_SF_bbb.kd
    .uniform_work_group_size: 1
    .uses_dynamic_stack: false
    .vgpr_count:     52
    .vgpr_spill_count: 0
    .wavefront_size: 32
  - .args:
      - .offset:         0
        .size:           8
        .value_kind:     by_value
      - .offset:         8
        .size:           8
        .value_kind:     by_value
      - .offset:         16
        .size:           16
        .value_kind:     by_value
      - .actual_access:  read_only
        .address_space:  global
        .offset:         32
        .size:           8
        .value_kind:     global_buffer
      - .actual_access:  read_only
        .address_space:  global
        .offset:         40
        .size:           8
        .value_kind:     global_buffer
      - .actual_access:  read_only
        .address_space:  global
        .offset:         48
        .size:           8
        .value_kind:     global_buffer
      - .offset:         56
        .size:           16
        .value_kind:     by_value
      - .actual_access:  read_only
        .address_space:  global
        .offset:         72
        .size:           8
        .value_kind:     global_buffer
      - .actual_access:  read_only
        .address_space:  global
        .offset:         80
        .size:           8
        .value_kind:     global_buffer
      - .actual_access:  read_only
        .address_space:  global
        .offset:         88
        .size:           8
        .value_kind:     global_buffer
      - .actual_access:  read_only
        .address_space:  global
        .offset:         96
        .size:           8
        .value_kind:     global_buffer
      - .actual_access:  write_only
        .address_space:  global
        .offset:         104
        .size:           8
        .value_kind:     global_buffer
      - .offset:         112
        .size:           4
        .value_kind:     by_value
      - .offset:         116
        .size:           4
        .value_kind:     by_value
      - .offset:         120
        .size:           4
        .value_kind:     by_value
      - .offset:         124
        .size:           1
        .value_kind:     by_value
      - .offset:         125
        .size:           1
        .value_kind:     by_value
      - .offset:         126
        .size:           1
        .value_kind:     by_value
    .group_segment_fixed_size: 4352
    .kernarg_segment_align: 8
    .kernarg_segment_size: 128
    .language:       OpenCL C
    .language_version:
      - 2
      - 0
    .max_flat_workgroup_size: 256
    .name:           _ZN9rocsparseL37csrgeam_fill_numeric_multipass_kernelILj256ELj32Ell21rocsparse_complex_numIdEEEvllNS_24const_host_device_scalarIT3_EEPKT1_PKT2_PKS4_S5_S8_SB_SD_S8_PS4_21rocsparse_index_base_SF_SF_bbb
    .private_segment_fixed_size: 24
    .sgpr_count:     24
    .sgpr_spill_count: 0
    .symbol:         _ZN9rocsparseL37csrgeam_fill_numeric_multipass_kernelILj256ELj32Ell21rocsparse_complex_numIdEEEvllNS_24const_host_device_scalarIT3_EEPKT1_PKT2_PKS4_S5_S8_SB_SD_S8_PS4_21rocsparse_index_base_SF_SF_bbb.kd
    .uniform_work_group_size: 1
    .uses_dynamic_stack: false
    .vgpr_count:     56
    .vgpr_spill_count: 0
    .wavefront_size: 32
  - .args:
      - .offset:         0
        .size:           8
        .value_kind:     by_value
      - .offset:         8
        .size:           8
        .value_kind:     by_value
      - .offset:         16
        .size:           16
        .value_kind:     by_value
      - .actual_access:  read_only
        .address_space:  global
        .offset:         32
        .size:           8
        .value_kind:     global_buffer
      - .actual_access:  read_only
        .address_space:  global
        .offset:         40
        .size:           8
        .value_kind:     global_buffer
      - .actual_access:  read_only
        .address_space:  global
        .offset:         48
        .size:           8
        .value_kind:     global_buffer
      - .offset:         56
        .size:           16
        .value_kind:     by_value
      - .actual_access:  read_only
        .address_space:  global
        .offset:         72
        .size:           8
        .value_kind:     global_buffer
      - .actual_access:  read_only
        .address_space:  global
        .offset:         80
        .size:           8
        .value_kind:     global_buffer
      - .actual_access:  read_only
        .address_space:  global
        .offset:         88
        .size:           8
        .value_kind:     global_buffer
      - .actual_access:  read_only
        .address_space:  global
        .offset:         96
        .size:           8
        .value_kind:     global_buffer
      - .actual_access:  write_only
        .address_space:  global
        .offset:         104
        .size:           8
        .value_kind:     global_buffer
      - .offset:         112
        .size:           4
        .value_kind:     by_value
      - .offset:         116
        .size:           4
        .value_kind:     by_value
      - .offset:         120
        .size:           4
        .value_kind:     by_value
      - .offset:         124
        .size:           1
        .value_kind:     by_value
      - .offset:         125
        .size:           1
        .value_kind:     by_value
      - .offset:         126
        .size:           1
        .value_kind:     by_value
    .group_segment_fixed_size: 4352
    .kernarg_segment_align: 8
    .kernarg_segment_size: 128
    .language:       OpenCL C
    .language_version:
      - 2
      - 0
    .max_flat_workgroup_size: 256
    .name:           _ZN9rocsparseL37csrgeam_fill_numeric_multipass_kernelILj256ELj64Ell21rocsparse_complex_numIdEEEvllNS_24const_host_device_scalarIT3_EEPKT1_PKT2_PKS4_S5_S8_SB_SD_S8_PS4_21rocsparse_index_base_SF_SF_bbb
    .private_segment_fixed_size: 24
    .sgpr_count:     24
    .sgpr_spill_count: 0
    .symbol:         _ZN9rocsparseL37csrgeam_fill_numeric_multipass_kernelILj256ELj64Ell21rocsparse_complex_numIdEEEvllNS_24const_host_device_scalarIT3_EEPKT1_PKT2_PKS4_S5_S8_SB_SD_S8_PS4_21rocsparse_index_base_SF_SF_bbb.kd
    .uniform_work_group_size: 1
    .uses_dynamic_stack: false
    .vgpr_count:     56
    .vgpr_spill_count: 0
    .wavefront_size: 32
amdhsa.target:   amdgcn-amd-amdhsa--gfx1250
amdhsa.version:
  - 1
  - 2
...

	.end_amdgpu_metadata
